;; amdgpu-corpus repo=ROCm/rocFFT kind=compiled arch=gfx906 opt=O3
	.text
	.amdgcn_target "amdgcn-amd-amdhsa--gfx906"
	.amdhsa_code_object_version 6
	.protected	bluestein_single_back_len1144_dim1_half_op_CI_CI ; -- Begin function bluestein_single_back_len1144_dim1_half_op_CI_CI
	.globl	bluestein_single_back_len1144_dim1_half_op_CI_CI
	.p2align	8
	.type	bluestein_single_back_len1144_dim1_half_op_CI_CI,@function
bluestein_single_back_len1144_dim1_half_op_CI_CI: ; @bluestein_single_back_len1144_dim1_half_op_CI_CI
; %bb.0:
	s_load_dwordx4 s[0:3], s[4:5], 0x28
	v_mul_u32_u24_e32 v1, 0x277, v0
	v_add_u32_sdwa v22, s6, v1 dst_sel:DWORD dst_unused:UNUSED_PAD src0_sel:DWORD src1_sel:WORD_1
	v_mov_b32_e32 v23, 0
	s_waitcnt lgkmcnt(0)
	v_cmp_gt_u64_e32 vcc, s[0:1], v[22:23]
	s_and_saveexec_b64 s[0:1], vcc
	s_cbranch_execz .LBB0_23
; %bb.1:
	s_load_dwordx2 s[6:7], s[4:5], 0x0
	s_load_dwordx2 s[12:13], s[4:5], 0x38
	s_movk_i32 s0, 0x68
	v_mul_lo_u16_sdwa v1, v1, s0 dst_sel:DWORD dst_unused:UNUSED_PAD src0_sel:WORD_1 src1_sel:DWORD
	v_sub_u16_e32 v44, v0, v1
	s_movk_i32 s0, 0x58
	v_cmp_gt_u16_e64 s[0:1], s0, v44
	v_lshlrev_b32_e32 v43, 2, v44
	s_and_saveexec_b64 s[8:9], s[0:1]
	s_cbranch_execz .LBB0_3
; %bb.2:
	s_load_dwordx2 s[10:11], s[4:5], 0x18
	s_waitcnt lgkmcnt(0)
	global_load_dword v7, v43, s[6:7]
	s_load_dwordx4 s[16:19], s[10:11], 0x0
	s_waitcnt lgkmcnt(0)
	v_mad_u64_u32 v[0:1], s[10:11], s18, v22, 0
	v_mad_u64_u32 v[2:3], s[10:11], s16, v44, 0
	;; [unrolled: 1-line block ×4, first 2 shown]
	v_mov_b32_e32 v1, v4
	v_lshlrev_b64 v[0:1], 2, v[0:1]
	v_mov_b32_e32 v3, v5
	v_mov_b32_e32 v6, s3
	v_lshlrev_b64 v[2:3], 2, v[2:3]
	v_add_co_u32_e32 v0, vcc, s2, v0
	v_addc_co_u32_e32 v1, vcc, v6, v1, vcc
	v_add_co_u32_e32 v0, vcc, v0, v2
	v_addc_co_u32_e32 v1, vcc, v1, v3, vcc
	global_load_dword v4, v[0:1], off
	v_mov_b32_e32 v2, s7
	v_add_co_u32_e32 v5, vcc, s6, v43
	s_mul_i32 s2, s17, 0x160
	s_mul_hi_u32 s3, s16, 0x160
	v_addc_co_u32_e32 v6, vcc, 0, v2, vcc
	s_add_i32 s2, s3, s2
	s_mul_i32 s3, s16, 0x160
	v_mov_b32_e32 v2, s2
	v_add_co_u32_e32 v0, vcc, s3, v0
	v_addc_co_u32_e32 v1, vcc, v1, v2, vcc
	v_mov_b32_e32 v3, s2
	v_add_co_u32_e32 v2, vcc, s3, v0
	v_addc_co_u32_e32 v3, vcc, v1, v3, vcc
	global_load_dword v8, v[0:1], off
	global_load_dword v9, v[2:3], off
	global_load_dword v10, v43, s[6:7] offset:352
	global_load_dword v11, v43, s[6:7] offset:704
	v_mov_b32_e32 v1, s2
	v_add_co_u32_e32 v0, vcc, s3, v2
	v_addc_co_u32_e32 v1, vcc, v3, v1, vcc
	v_mov_b32_e32 v3, s2
	v_add_co_u32_e32 v2, vcc, s3, v0
	v_addc_co_u32_e32 v3, vcc, v1, v3, vcc
	global_load_dword v12, v[0:1], off
	global_load_dword v13, v[2:3], off
	global_load_dword v14, v43, s[6:7] offset:1056
	global_load_dword v15, v43, s[6:7] offset:1408
	v_mov_b32_e32 v1, s2
	v_add_co_u32_e32 v0, vcc, s3, v2
	v_addc_co_u32_e32 v1, vcc, v3, v1, vcc
	global_load_dword v16, v[0:1], off
	v_mov_b32_e32 v2, s2
	v_add_co_u32_e32 v0, vcc, s3, v0
	v_addc_co_u32_e32 v1, vcc, v1, v2, vcc
	global_load_dword v17, v[0:1], off
	global_load_dword v18, v43, s[6:7] offset:1760
	global_load_dword v19, v43, s[6:7] offset:2112
	v_add_co_u32_e32 v0, vcc, s3, v0
	v_addc_co_u32_e32 v1, vcc, v1, v2, vcc
	global_load_dword v20, v[0:1], off
	global_load_dword v21, v43, s[6:7] offset:2464
	v_add_co_u32_e32 v0, vcc, s3, v0
	v_addc_co_u32_e32 v1, vcc, v1, v2, vcc
	global_load_dword v23, v[0:1], off
	v_add_co_u32_e32 v0, vcc, s3, v0
	v_addc_co_u32_e32 v1, vcc, v1, v2, vcc
	global_load_dword v24, v[0:1], off
	global_load_dword v25, v43, s[6:7] offset:2816
	global_load_dword v26, v43, s[6:7] offset:3168
	v_add_co_u32_e32 v0, vcc, s3, v0
	v_addc_co_u32_e32 v1, vcc, v1, v2, vcc
	global_load_dword v27, v[0:1], off
	v_add_co_u32_e32 v0, vcc, s3, v0
	v_addc_co_u32_e32 v1, vcc, v1, v2, vcc
	v_mov_b32_e32 v3, s2
	v_add_co_u32_e32 v2, vcc, s3, v0
	v_addc_co_u32_e32 v3, vcc, v1, v3, vcc
	global_load_dword v28, v43, s[6:7] offset:3520
	global_load_dword v29, v[0:1], off
	global_load_dword v30, v43, s[6:7] offset:3872
	global_load_dword v31, v[2:3], off
	v_add_co_u32_e32 v0, vcc, 0x1000, v5
	v_addc_co_u32_e32 v1, vcc, 0, v6, vcc
	global_load_dword v0, v[0:1], off offset:128
	s_waitcnt vmcnt(24)
	v_lshrrev_b32_e32 v2, 16, v4
	v_mul_f16_sdwa v1, v7, v2 dst_sel:DWORD dst_unused:UNUSED_PAD src0_sel:WORD_1 src1_sel:DWORD
	v_mul_f16_sdwa v3, v7, v4 dst_sel:DWORD dst_unused:UNUSED_PAD src0_sel:WORD_1 src1_sel:DWORD
	v_fma_f16 v1, v7, v4, v1
	v_fma_f16 v2, v7, v2, -v3
	v_pack_b32_f16 v1, v1, v2
	s_waitcnt vmcnt(23)
	v_lshrrev_b32_e32 v2, 16, v8
	s_waitcnt vmcnt(21)
	v_mul_f16_sdwa v3, v10, v2 dst_sel:DWORD dst_unused:UNUSED_PAD src0_sel:WORD_1 src1_sel:DWORD
	v_mul_f16_sdwa v4, v10, v8 dst_sel:DWORD dst_unused:UNUSED_PAD src0_sel:WORD_1 src1_sel:DWORD
	v_fma_f16 v3, v10, v8, v3
	v_fma_f16 v2, v10, v2, -v4
	v_pack_b32_f16 v2, v3, v2
	ds_write2_b32 v43, v1, v2 offset1:88
	v_lshrrev_b32_e32 v1, 16, v9
	s_waitcnt vmcnt(20)
	v_mul_f16_sdwa v2, v11, v1 dst_sel:DWORD dst_unused:UNUSED_PAD src0_sel:WORD_1 src1_sel:DWORD
	v_mul_f16_sdwa v3, v11, v9 dst_sel:DWORD dst_unused:UNUSED_PAD src0_sel:WORD_1 src1_sel:DWORD
	v_fma_f16 v2, v11, v9, v2
	v_fma_f16 v1, v11, v1, -v3
	v_pack_b32_f16 v1, v2, v1
	s_waitcnt vmcnt(19)
	v_lshrrev_b32_e32 v2, 16, v12
	s_waitcnt vmcnt(17)
	v_mul_f16_sdwa v3, v14, v2 dst_sel:DWORD dst_unused:UNUSED_PAD src0_sel:WORD_1 src1_sel:DWORD
	v_mul_f16_sdwa v4, v14, v12 dst_sel:DWORD dst_unused:UNUSED_PAD src0_sel:WORD_1 src1_sel:DWORD
	v_fma_f16 v3, v14, v12, v3
	v_fma_f16 v2, v14, v2, -v4
	v_pack_b32_f16 v2, v3, v2
	v_add_u32_e32 v3, 0x200, v43
	ds_write2_b32 v3, v1, v2 offset0:48 offset1:136
	v_lshrrev_b32_e32 v1, 16, v13
	s_waitcnt vmcnt(16)
	v_mul_f16_sdwa v2, v15, v1 dst_sel:DWORD dst_unused:UNUSED_PAD src0_sel:WORD_1 src1_sel:DWORD
	v_mul_f16_sdwa v3, v15, v13 dst_sel:DWORD dst_unused:UNUSED_PAD src0_sel:WORD_1 src1_sel:DWORD
	v_fma_f16 v2, v15, v13, v2
	v_fma_f16 v1, v15, v1, -v3
	v_pack_b32_f16 v1, v2, v1
	s_waitcnt vmcnt(15)
	v_lshrrev_b32_e32 v2, 16, v16
	s_waitcnt vmcnt(13)
	v_mul_f16_sdwa v3, v18, v2 dst_sel:DWORD dst_unused:UNUSED_PAD src0_sel:WORD_1 src1_sel:DWORD
	v_mul_f16_sdwa v4, v18, v16 dst_sel:DWORD dst_unused:UNUSED_PAD src0_sel:WORD_1 src1_sel:DWORD
	v_fma_f16 v3, v18, v16, v3
	v_fma_f16 v2, v18, v2, -v4
	v_pack_b32_f16 v2, v3, v2
	v_add_u32_e32 v3, 0x400, v43
	ds_write2_b32 v3, v1, v2 offset0:96 offset1:184
	;; [unrolled: 17-line block ×3, first 2 shown]
	s_waitcnt vmcnt(9)
	v_lshrrev_b32_e32 v1, 16, v23
	s_waitcnt vmcnt(7)
	v_mul_f16_sdwa v2, v25, v1 dst_sel:DWORD dst_unused:UNUSED_PAD src0_sel:WORD_1 src1_sel:DWORD
	v_mul_f16_sdwa v3, v25, v23 dst_sel:DWORD dst_unused:UNUSED_PAD src0_sel:WORD_1 src1_sel:DWORD
	v_fma_f16 v2, v25, v23, v2
	v_fma_f16 v1, v25, v1, -v3
	v_pack_b32_f16 v1, v2, v1
	v_lshrrev_b32_e32 v2, 16, v24
	s_waitcnt vmcnt(6)
	v_mul_f16_sdwa v3, v26, v2 dst_sel:DWORD dst_unused:UNUSED_PAD src0_sel:WORD_1 src1_sel:DWORD
	v_mul_f16_sdwa v4, v26, v24 dst_sel:DWORD dst_unused:UNUSED_PAD src0_sel:WORD_1 src1_sel:DWORD
	v_fma_f16 v3, v26, v24, v3
	v_fma_f16 v2, v26, v2, -v4
	v_pack_b32_f16 v2, v3, v2
	v_add_u32_e32 v3, 0xa00, v43
	ds_write2_b32 v3, v1, v2 offset0:64 offset1:152
	s_waitcnt vmcnt(5)
	v_lshrrev_b32_e32 v1, 16, v27
	s_waitcnt vmcnt(4)
	v_mul_f16_sdwa v2, v28, v1 dst_sel:DWORD dst_unused:UNUSED_PAD src0_sel:WORD_1 src1_sel:DWORD
	v_mul_f16_sdwa v3, v28, v27 dst_sel:DWORD dst_unused:UNUSED_PAD src0_sel:WORD_1 src1_sel:DWORD
	v_fma_f16 v2, v28, v27, v2
	v_fma_f16 v1, v28, v1, -v3
	v_pack_b32_f16 v1, v2, v1
	s_waitcnt vmcnt(3)
	v_lshrrev_b32_e32 v2, 16, v29
	s_waitcnt vmcnt(2)
	v_mul_f16_sdwa v3, v30, v2 dst_sel:DWORD dst_unused:UNUSED_PAD src0_sel:WORD_1 src1_sel:DWORD
	v_mul_f16_sdwa v4, v30, v29 dst_sel:DWORD dst_unused:UNUSED_PAD src0_sel:WORD_1 src1_sel:DWORD
	v_fma_f16 v3, v30, v29, v3
	v_fma_f16 v2, v30, v2, -v4
	v_pack_b32_f16 v2, v3, v2
	v_add_u32_e32 v3, 0xc00, v43
	ds_write2_b32 v3, v1, v2 offset0:112 offset1:200
	s_waitcnt vmcnt(1)
	v_lshrrev_b32_e32 v1, 16, v31
	s_waitcnt vmcnt(0)
	v_mul_f16_sdwa v2, v0, v1 dst_sel:DWORD dst_unused:UNUSED_PAD src0_sel:WORD_1 src1_sel:DWORD
	v_mul_f16_sdwa v3, v0, v31 dst_sel:DWORD dst_unused:UNUSED_PAD src0_sel:WORD_1 src1_sel:DWORD
	v_fma_f16 v2, v0, v31, v2
	v_fma_f16 v0, v0, v1, -v3
	v_pack_b32_f16 v0, v2, v0
	ds_write_b32 v43, v0 offset:4224
.LBB0_3:
	s_or_b64 exec, exec, s[8:9]
	s_load_dwordx2 s[2:3], s[4:5], 0x20
	s_load_dwordx2 s[14:15], s[4:5], 0x8
	v_mov_b32_e32 v0, 0
	s_waitcnt lgkmcnt(0)
	s_barrier
	s_waitcnt lgkmcnt(0)
                                        ; implicit-def: $vgpr12
                                        ; implicit-def: $vgpr11
                                        ; implicit-def: $vgpr9
                                        ; implicit-def: $vgpr7
                                        ; implicit-def: $vgpr5
                                        ; implicit-def: $vgpr3
	s_and_saveexec_b64 s[4:5], s[0:1]
	s_cbranch_execz .LBB0_5
; %bb.4:
	v_add_u32_e32 v2, 0x200, v43
	v_add_u32_e32 v4, 0x400, v43
	v_add_u32_e32 v6, 0x800, v43
	v_add_u32_e32 v8, 0xa00, v43
	v_add_u32_e32 v10, 0xc00, v43
	ds_read2_b32 v[0:1], v43 offset1:88
	ds_read2_b32 v[2:3], v2 offset0:48 offset1:136
	ds_read2_b32 v[4:5], v4 offset0:96 offset1:184
	;; [unrolled: 1-line block ×5, first 2 shown]
	ds_read_b32 v12, v43 offset:4224
.LBB0_5:
	s_or_b64 exec, exec, s[4:5]
	s_waitcnt lgkmcnt(0)
	v_pk_add_f16 v13, v1, v12 neg_lo:[0,1] neg_hi:[0,1]
	s_mov_b32 s25, 0xb770
	v_pk_add_f16 v15, v12, v1
	s_movk_i32 s8, 0x3b15
	v_mul_f16_sdwa v23, v13, s25 dst_sel:DWORD dst_unused:UNUSED_PAD src0_sel:WORD_1 src1_sel:DWORD
	v_fma_f16 v14, v15, s8, v23
	v_lshrrev_b32_e32 v31, 16, v15
	s_movk_i32 s9, 0x388b
	v_mul_f16_e32 v32, 0xba95, v13
	v_add_f16_e32 v16, v14, v0
	v_fma_f16 v14, v31, s9, -v32
	s_mov_b32 s20, 0xba95
	v_add_f16_sdwa v18, v14, v0 dst_sel:DWORD dst_unused:UNUSED_PAD src0_sel:DWORD src1_sel:WORD_1
	v_pk_add_f16 v14, v2, v11 neg_lo:[0,1] neg_hi:[0,1]
	v_pk_add_f16 v17, v11, v2
	v_mul_f16_sdwa v27, v14, s20 dst_sel:DWORD dst_unused:UNUSED_PAD src0_sel:WORD_1 src1_sel:DWORD
	v_fma_f16 v19, v17, s9, v27
	v_lshrrev_b32_e32 v34, 16, v17
	s_mov_b32 s11, 0xb5ac
	v_mul_f16_e32 v35, 0xbb7b, v14
	v_add_f16_e32 v19, v19, v16
	v_fma_f16 v16, v34, s11, -v35
	v_add_f16_e32 v20, v16, v18
	v_pk_add_f16 v16, v3, v10 neg_lo:[0,1] neg_hi:[0,1]
	s_mov_b32 s23, 0xbbf1
	v_pk_add_f16 v18, v10, v3
	s_movk_i32 s16, 0x2fb7
	v_mul_f16_sdwa v30, v16, s23 dst_sel:DWORD dst_unused:UNUSED_PAD src0_sel:WORD_1 src1_sel:DWORD
	v_fma_f16 v21, v18, s16, v30
	v_lshrrev_b32_e32 v37, 16, v18
	s_mov_b32 s17, 0xbbc4
	v_mul_f16_e32 v38, 0xb3a8, v16
	v_add_f16_e32 v21, v21, v19
	v_fma_f16 v19, v37, s17, -v38
	s_mov_b32 s10, 0xbb7b
	v_add_f16_e32 v24, v19, v20
	v_pk_add_f16 v19, v4, v9 neg_lo:[0,1] neg_hi:[0,1]
	v_pk_add_f16 v20, v9, v4
	v_mul_f16_sdwa v33, v19, s10 dst_sel:DWORD dst_unused:UNUSED_PAD src0_sel:WORD_1 src1_sel:DWORD
	v_fma_f16 v25, v20, s11, v33
	s_mov_b32 s19, 0xb9fd
	v_lshrrev_b32_e32 v39, 16, v20
	v_mul_f16_e32 v40, 0x394e, v19
	v_add_f16_e32 v25, v25, v21
	v_fma_f16 v21, v39, s19, -v40
	v_add_f16_e32 v26, v21, v24
	s_mov_b32 s18, 0xb94e
	v_pk_add_f16 v21, v5, v8 neg_lo:[0,1] neg_hi:[0,1]
	v_pk_add_f16 v24, v8, v5
	v_mul_f16_sdwa v36, v21, s18 dst_sel:DWORD dst_unused:UNUSED_PAD src0_sel:WORD_1 src1_sel:DWORD
	v_fma_f16 v28, v24, s19, v36
	v_lshrrev_b32_e32 v46, 16, v24
	v_mul_f16_e32 v47, 0x3bf1, v21
	v_add_f16_e32 v25, v28, v25
	v_fma_f16 v28, v46, s16, -v47
	v_add_f16_e32 v28, v28, v26
	v_pk_add_f16 v29, v7, v6
	v_pk_add_f16 v26, v6, v7 neg_lo:[0,1] neg_hi:[0,1]
	v_lshrrev_b32_e32 v48, 16, v29
	v_mul_f16_e32 v49, 0x3770, v26
	v_fma_f16 v41, v48, s8, -v49
	s_mov_b32 s4, 0x3b15388b
	v_add_f16_e32 v41, v41, v28
	s_mov_b32 s5, 0xba95b770
	v_pk_mul_f16 v28, v15, s4
	s_mov_b32 s4, 0x388bb5ac
	v_pk_fma_f16 v50, v13, s5, v28 op_sel:[0,0,1] op_sel_hi:[1,1,0] neg_lo:[1,0,0] neg_hi:[1,0,0]
	v_pk_fma_f16 v51, v13, s5, v28 op_sel:[0,0,1] op_sel_hi:[1,1,0]
	s_mov_b32 s5, 0xbb7bba95
	v_pk_mul_f16 v28, v17, s4
	s_mov_b32 s4, 0x2fb7bbc4
	v_pk_fma_f16 v53, v14, s5, v28 op_sel:[0,0,1] op_sel_hi:[1,1,0] neg_lo:[1,0,0] neg_hi:[1,0,0]
	v_pk_fma_f16 v54, v14, s5, v28 op_sel:[0,0,1] op_sel_hi:[1,1,0]
	s_mov_b32 s5, 0xb3a8bbf1
	v_pk_mul_f16 v28, v18, s4
	s_mov_b32 s4, 0xb5acb9fd
	s_mov_b32 s21, 0xb3a8
	v_pk_fma_f16 v55, v16, s5, v28 op_sel:[0,0,1] op_sel_hi:[1,1,0] neg_lo:[1,0,0] neg_hi:[1,0,0]
	v_pk_fma_f16 v56, v16, s5, v28 op_sel:[0,0,1] op_sel_hi:[1,1,0]
	s_mov_b32 s5, 0x394ebb7b
	v_pk_mul_f16 v28, v20, s4
	s_mov_b32 s4, 0xb9fd2fb7
	v_pk_fma_f16 v57, v19, s5, v28 op_sel:[0,0,1] op_sel_hi:[1,1,0] neg_lo:[1,0,0] neg_hi:[1,0,0]
	v_pk_fma_f16 v58, v19, s5, v28 op_sel:[0,0,1] op_sel_hi:[1,1,0]
	s_mov_b32 s5, 0x3bf1b94e
	v_pk_mul_f16 v28, v24, s4
	v_mul_f16_sdwa v52, v26, s21 dst_sel:DWORD dst_unused:UNUSED_PAD src0_sel:WORD_1 src1_sel:DWORD
	v_pk_fma_f16 v59, v21, s5, v28 op_sel:[0,0,1] op_sel_hi:[1,1,0] neg_lo:[1,0,0] neg_hi:[1,0,0]
	v_pk_fma_f16 v60, v21, s5, v28 op_sel:[0,0,1] op_sel_hi:[1,1,0]
	v_fma_f16 v28, v29, s17, v52
	v_add_f16_e32 v25, v28, v25
	v_add_f16_sdwa v28, v50, v0 dst_sel:DWORD dst_unused:UNUSED_PAD src0_sel:DWORD src1_sel:WORD_1
	v_add_f16_e32 v28, v53, v28
	s_mov_b32 s4, 0xbbc43b15
	v_add_f16_e32 v28, v55, v28
	s_mov_b32 s5, 0x3770b3a8
	v_add_f16_e32 v28, v57, v28
	v_pk_mul_f16 v45, v29, s4
	v_add_f16_e32 v28, v59, v28
	v_pk_fma_f16 v61, v26, s5, v45 op_sel:[0,0,1] op_sel_hi:[1,1,0] neg_lo:[1,0,0] neg_hi:[1,0,0]
	v_add_f16_e32 v42, v61, v28
	v_add_f16_sdwa v28, v51, v0 dst_sel:DWORD dst_unused:UNUSED_PAD src0_sel:WORD_1 src1_sel:DWORD
	v_add_f16_sdwa v28, v54, v28 dst_sel:DWORD dst_unused:UNUSED_PAD src0_sel:WORD_1 src1_sel:DWORD
	;; [unrolled: 1-line block ×4, first 2 shown]
	v_pk_fma_f16 v62, v26, s5, v45 op_sel:[0,0,1] op_sel_hi:[1,1,0]
	v_add_f16_sdwa v28, v60, v28 dst_sel:DWORD dst_unused:UNUSED_PAD src0_sel:WORD_1 src1_sel:DWORD
	s_movk_i32 s27, 0x394e
	s_movk_i32 s22, 0x3bf1
	;; [unrolled: 1-line block ×3, first 2 shown]
	v_add_f16_sdwa v28, v62, v28 dst_sel:DWORD dst_unused:UNUSED_PAD src0_sel:WORD_1 src1_sel:DWORD
	v_mul_lo_u16_e32 v45, 13, v44
	s_barrier
	s_and_saveexec_b64 s[4:5], s[0:1]
	s_cbranch_execz .LBB0_7
; %bb.6:
	v_mul_f16_e32 v63, 0x2fb7, v31
	v_fma_f16 v64, v13, s22, v63
	s_movk_i32 s28, 0x33a8
	v_mul_f16_e32 v65, 0xbbc4, v34
	v_add_f16_sdwa v64, v64, v0 dst_sel:DWORD dst_unused:UNUSED_PAD src0_sel:DWORD src1_sel:WORD_1
	v_fma_f16 v66, v14, s28, v65
	v_add_f16_e32 v64, v66, v64
	v_mul_f16_e32 v66, 0xb5ac, v37
	v_fma_f16 v67, v16, s10, v66
	v_add_f16_e32 v64, v67, v64
	v_mul_f16_e32 v67, 0x3b15, v39
	v_fma_f16 v68, v19, s25, v67
	v_add_f16_e32 v64, v68, v64
	s_movk_i32 s26, 0x3a95
	v_mul_f16_e32 v68, 0x388b, v46
	v_fma_f16 v69, v21, s26, v68
	v_add_f16_e32 v64, v69, v64
	v_mul_f16_e32 v69, 0xb9fd, v48
	v_fma_f16 v70, v26, s27, v69
	v_add_f16_e32 v64, v70, v64
	v_mul_f16_sdwa v70, v13, s23 dst_sel:DWORD dst_unused:UNUSED_PAD src0_sel:WORD_1 src1_sel:DWORD
	v_fma_f16 v71, v15, s16, v70
	v_mul_f16_sdwa v72, v14, s21 dst_sel:DWORD dst_unused:UNUSED_PAD src0_sel:WORD_1 src1_sel:DWORD
	v_add_f16_e32 v71, v71, v0
	v_fma_f16 v73, v17, s17, v72
	s_movk_i32 s29, 0x3b7b
	v_add_f16_e32 v71, v73, v71
	v_mul_f16_sdwa v73, v16, s29 dst_sel:DWORD dst_unused:UNUSED_PAD src0_sel:WORD_1 src1_sel:DWORD
	v_fma_f16 v74, v18, s11, v73
	v_add_f16_e32 v71, v74, v71
	v_mul_f16_sdwa v74, v19, s24 dst_sel:DWORD dst_unused:UNUSED_PAD src0_sel:WORD_1 src1_sel:DWORD
	v_fma_f16 v75, v20, s8, v74
	;; [unrolled: 3-line block ×4, first 2 shown]
	v_add_f16_e32 v71, v77, v71
	v_mul_f16_e32 v77, 0xb5ac, v31
	v_fma_f16 v78, v13, s29, v77
	v_mul_f16_e32 v79, 0xb9fd, v34
	v_add_f16_sdwa v78, v78, v0 dst_sel:DWORD dst_unused:UNUSED_PAD src0_sel:DWORD src1_sel:WORD_1
	v_fma_f16 v80, v14, s18, v79
	v_add_f16_e32 v78, v80, v78
	v_mul_f16_e32 v80, 0x3b15, v37
	v_fma_f16 v81, v16, s25, v80
	v_add_f16_e32 v78, v81, v78
	v_mul_f16_e32 v81, 0x2fb7, v39
	;; [unrolled: 3-line block ×4, first 2 shown]
	v_fma_f16 v84, v26, s20, v83
	v_add_f16_e32 v78, v84, v78
	v_mul_f16_sdwa v84, v13, s10 dst_sel:DWORD dst_unused:UNUSED_PAD src0_sel:WORD_1 src1_sel:DWORD
	v_fma_f16 v85, v15, s11, v84
	v_mul_f16_sdwa v86, v14, s27 dst_sel:DWORD dst_unused:UNUSED_PAD src0_sel:WORD_1 src1_sel:DWORD
	v_add_f16_e32 v85, v85, v0
	v_fma_f16 v87, v17, s19, v86
	v_add_f16_e32 v85, v87, v85
	v_mul_f16_sdwa v87, v16, s24 dst_sel:DWORD dst_unused:UNUSED_PAD src0_sel:WORD_1 src1_sel:DWORD
	v_fma_f16 v88, v18, s8, v87
	v_add_f16_e32 v85, v88, v85
	v_mul_f16_sdwa v88, v19, s23 dst_sel:DWORD dst_unused:UNUSED_PAD src0_sel:WORD_1 src1_sel:DWORD
	;; [unrolled: 3-line block ×4, first 2 shown]
	v_fma_f16 v91, v29, s9, v90
	v_add_f16_e32 v85, v91, v85
	v_mul_f16_e32 v91, 0xb9fd, v31
	v_fma_f16 v92, v13, s27, v91
	v_mul_f16_e32 v93, 0x2fb7, v34
	v_add_f16_sdwa v92, v92, v0 dst_sel:DWORD dst_unused:UNUSED_PAD src0_sel:DWORD src1_sel:WORD_1
	v_fma_f16 v94, v14, s23, v93
	v_add_f16_e32 v92, v94, v92
	v_mul_f16_e32 v94, 0x388b, v37
	v_fma_f16 v95, v16, s26, v94
	v_mul_f16_e32 v31, 0x388b, v31
	v_add_f16_e32 v92, v95, v92
	v_mul_f16_e32 v95, 0xbbc4, v39
	v_add_f16_e32 v31, v32, v31
	v_mul_f16_e32 v32, 0xb5ac, v34
	v_fma_f16 v96, v19, s21, v95
	v_add_f16_e32 v32, v35, v32
	v_add_f16_sdwa v31, v31, v0 dst_sel:DWORD dst_unused:UNUSED_PAD src0_sel:DWORD src1_sel:WORD_1
	v_add_f16_e32 v92, v96, v92
	v_mul_f16_e32 v96, 0x3b15, v46
	v_add_f16_e32 v31, v32, v31
	v_mul_f16_e32 v32, 0xbbc4, v37
	v_fma_f16 v97, v21, s25, v96
	v_add_f16_e32 v32, v38, v32
	v_add_f16_e32 v92, v97, v92
	v_mul_f16_e32 v97, 0xb5ac, v48
	v_fma_f16 v91, v13, s18, v91
	v_fma_f16 v77, v13, s10, v77
	;; [unrolled: 1-line block ×3, first 2 shown]
	v_add_f16_e32 v31, v32, v31
	v_mul_f16_e32 v32, 0xb9fd, v39
	v_fma_f16 v98, v26, s29, v97
	v_add_f16_sdwa v91, v91, v0 dst_sel:DWORD dst_unused:UNUSED_PAD src0_sel:DWORD src1_sel:WORD_1
	v_fma_f16 v93, v14, s22, v93
	v_add_f16_sdwa v77, v77, v0 dst_sel:DWORD dst_unused:UNUSED_PAD src0_sel:DWORD src1_sel:WORD_1
	;; [unrolled: 2-line block ×3, first 2 shown]
	v_fma_f16 v65, v14, s21, v65
	v_add_f16_e32 v32, v40, v32
	v_add_f16_e32 v92, v98, v92
	v_mul_f16_sdwa v98, v13, s18 dst_sel:DWORD dst_unused:UNUSED_PAD src0_sel:WORD_1 src1_sel:DWORD
	v_add_f16_e32 v91, v93, v91
	v_fma_f16 v93, v16, s20, v94
	v_add_f16_e32 v77, v79, v77
	v_fma_f16 v79, v16, s24, v80
	;; [unrolled: 2-line block ×3, first 2 shown]
	v_add_f16_e32 v31, v32, v31
	v_mul_f16_e32 v32, 0x2fb7, v46
	v_fma_f16 v99, v15, s19, v98
	v_mul_f16_sdwa v100, v14, s22 dst_sel:DWORD dst_unused:UNUSED_PAD src0_sel:WORD_1 src1_sel:DWORD
	v_add_f16_e32 v91, v93, v91
	v_fma_f16 v93, v19, s28, v95
	v_add_f16_e32 v77, v79, v77
	v_fma_f16 v79, v19, s23, v81
	;; [unrolled: 2-line block ×3, first 2 shown]
	v_add_f16_e32 v32, v47, v32
	v_alignbit_b32 v38, v0, v0, 16
	v_add_f16_e32 v99, v99, v0
	v_fma_f16 v101, v17, s16, v100
	v_add_f16_e32 v91, v93, v91
	v_fma_f16 v93, v21, s24, v96
	;; [unrolled: 2-line block ×4, first 2 shown]
	v_add_f16_e32 v31, v32, v31
	v_mul_f16_e32 v32, 0x3b15, v48
	v_pk_add_f16 v1, v1, v38 op_sel:[0,1] op_sel_hi:[1,0]
	v_add_f16_e32 v99, v101, v99
	v_mul_f16_sdwa v101, v16, s20 dst_sel:DWORD dst_unused:UNUSED_PAD src0_sel:WORD_1 src1_sel:DWORD
	v_add_f16_e32 v91, v93, v91
	v_fma_f16 v93, v26, s10, v97
	v_add_f16_e32 v77, v79, v77
	v_fma_f16 v79, v26, s26, v83
	;; [unrolled: 2-line block ×3, first 2 shown]
	v_add_f16_e32 v32, v49, v32
	s_mov_b32 s20, 0xffff
	v_mul_f16_e32 v40, 0x3b15, v15
	v_pk_add_f16 v1, v2, v1
	v_add_f16_e32 v91, v93, v91
	v_fma_f16 v93, v15, s19, -v98
	v_add_f16_e32 v77, v79, v77
	v_fma_f16 v79, v15, s11, -v84
	;; [unrolled: 2-line block ×3, first 2 shown]
	v_add_f16_e32 v31, v32, v31
	v_bfi_b32 v32, s20, v51, v50
	v_mul_f16_e32 v47, 0x388b, v17
	v_sub_f16_e32 v23, v40, v23
	v_pk_add_f16 v1, v3, v1
	v_fma_f16 v102, v18, s9, v101
	v_add_f16_e32 v93, v93, v0
	v_add_f16_e32 v79, v79, v0
	;; [unrolled: 1-line block ×3, first 2 shown]
	v_bfi_b32 v34, s20, v54, v53
	v_mul_f16_e32 v40, 0x2fb7, v18
	v_sub_f16_e32 v27, v47, v27
	v_add_f16_e32 v0, v23, v0
	v_pk_add_f16 v1, v4, v1
	v_pk_add_f16 v2, v32, v38
	v_add_f16_e32 v99, v102, v99
	v_mul_f16_sdwa v102, v19, s28 dst_sel:DWORD dst_unused:UNUSED_PAD src0_sel:WORD_1 src1_sel:DWORD
	v_fma_f16 v80, v17, s19, -v86
	v_fma_f16 v66, v17, s17, -v72
	v_bfi_b32 v35, s20, v56, v55
	v_mul_f16_e32 v47, 0xb5ac, v20
	v_add_f16_e32 v0, v27, v0
	v_sub_f16_e32 v27, v40, v30
	v_pk_add_f16 v1, v5, v1
	v_pk_add_f16 v2, v34, v2
	v_fma_f16 v103, v20, s17, v102
	v_fma_f16 v94, v17, s16, -v100
	v_add_f16_e32 v79, v80, v79
	v_fma_f16 v80, v18, s8, -v87
	v_add_f16_e32 v65, v66, v65
	v_fma_f16 v66, v18, s11, -v73
	v_bfi_b32 v37, s20, v58, v57
	v_mul_f16_e32 v23, 0xb9fd, v24
	v_add_f16_e32 v0, v27, v0
	v_sub_f16_e32 v27, v47, v33
	v_pk_add_f16 v1, v6, v1
	v_pk_add_f16 v2, v35, v2
	v_add_f16_e32 v99, v103, v99
	v_mul_f16_sdwa v103, v21, s24 dst_sel:DWORD dst_unused:UNUSED_PAD src0_sel:WORD_1 src1_sel:DWORD
	v_add_f16_e32 v93, v94, v93
	v_fma_f16 v94, v18, s9, -v101
	v_add_f16_e32 v79, v80, v79
	v_fma_f16 v80, v20, s16, -v88
	;; [unrolled: 2-line block ×3, first 2 shown]
	v_bfi_b32 v39, s20, v60, v59
	v_mul_f16_e32 v30, 0xbbc4, v29
	v_add_f16_e32 v0, v27, v0
	v_sub_f16_e32 v23, v23, v36
	v_pk_add_f16 v1, v7, v1
	v_pk_add_f16 v2, v37, v2
	v_fma_f16 v104, v24, s8, v103
	v_add_f16_e32 v93, v94, v93
	v_fma_f16 v94, v20, s17, -v102
	v_add_f16_e32 v79, v80, v79
	v_fma_f16 v80, v24, s17, -v89
	;; [unrolled: 2-line block ×3, first 2 shown]
	v_bfi_b32 v46, s20, v62, v61
	v_add_f16_e32 v0, v23, v0
	v_sub_f16_e32 v23, v30, v52
	v_pk_add_f16 v1, v8, v1
	v_pk_add_f16 v2, v39, v2
	v_add_f16_e32 v99, v104, v99
	v_mul_f16_sdwa v104, v26, s10 dst_sel:DWORD dst_unused:UNUSED_PAD src0_sel:WORD_1 src1_sel:DWORD
	v_add_f16_e32 v93, v94, v93
	v_fma_f16 v94, v24, s8, -v103
	v_add_f16_e32 v79, v80, v79
	v_fma_f16 v80, v29, s9, -v90
	;; [unrolled: 2-line block ×3, first 2 shown]
	v_add_f16_e32 v0, v23, v0
	v_pk_add_f16 v1, v9, v1
	v_pk_add_f16 v2, v46, v2
	v_add_f16_e32 v93, v94, v93
	v_fma_f16 v94, v29, s11, -v104
	v_add_f16_e32 v79, v80, v79
	v_add_f16_e32 v65, v66, v65
	v_lshlrev_b32_e32 v23, 2, v45
	v_pk_add_f16 v1, v10, v1
	v_alignbit_b32 v3, v31, v2, 16
	v_pack_b32_f16 v0, v0, v2
	v_add_f16_e32 v93, v94, v93
	v_pk_add_f16 v1, v11, v1
	ds_write2_b32 v23, v0, v3 offset0:1 offset1:2
	v_pack_b32_f16 v0, v79, v77
	v_pack_b32_f16 v2, v65, v63
	v_pk_add_f16 v1, v12, v1
	ds_write2_b32 v23, v2, v0 offset0:3 offset1:4
	v_pack_b32_f16 v0, v93, v91
	ds_write2_b32 v23, v1, v0 offset1:5
	v_pk_mul_f16 v0, v15, s17 op_sel_hi:[1,0]
	v_pk_fma_f16 v1, v13, s21, v0 op_sel:[0,0,1] op_sel_hi:[1,0,0] neg_lo:[1,0,0] neg_hi:[1,0,0]
	v_pk_mul_f16 v2, v17, s8 op_sel_hi:[1,0]
	v_pk_add_f16 v1, v1, v38
	v_pk_fma_f16 v3, v14, s24, v2 op_sel:[0,0,1] op_sel_hi:[1,0,0] neg_lo:[1,0,0] neg_hi:[1,0,0]
	v_pk_add_f16 v1, v3, v1
	v_pk_mul_f16 v3, v18, s19 op_sel_hi:[1,0]
	v_pk_fma_f16 v4, v16, s18, v3 op_sel:[0,0,1] op_sel_hi:[1,0,0] neg_lo:[1,0,0] neg_hi:[1,0,0]
	v_pk_add_f16 v1, v4, v1
	v_pk_mul_f16 v4, v20, s9 op_sel_hi:[1,0]
	v_pk_fma_f16 v0, v13, s21, v0 op_sel:[0,0,1] op_sel_hi:[1,0,0]
	v_pk_fma_f16 v5, v19, s26, v4 op_sel:[0,0,1] op_sel_hi:[1,0,0] neg_lo:[1,0,0] neg_hi:[1,0,0]
	v_pk_add_f16 v0, v0, v38
	v_pk_fma_f16 v2, v14, s24, v2 op_sel:[0,0,1] op_sel_hi:[1,0,0]
	v_pk_add_f16 v1, v5, v1
	v_pk_mul_f16 v5, v24, s11 op_sel_hi:[1,0]
	v_pk_add_f16 v0, v2, v0
	v_pk_fma_f16 v2, v16, s18, v3 op_sel:[0,0,1] op_sel_hi:[1,0,0]
	v_pk_fma_f16 v6, v21, s10, v5 op_sel:[0,0,1] op_sel_hi:[1,0,0] neg_lo:[1,0,0] neg_hi:[1,0,0]
	v_pk_add_f16 v0, v2, v0
	v_pk_fma_f16 v2, v19, s26, v4 op_sel:[0,0,1] op_sel_hi:[1,0,0]
	v_pk_add_f16 v1, v6, v1
	v_pk_mul_f16 v6, v29, s16 op_sel_hi:[1,0]
	v_pk_add_f16 v0, v2, v0
	v_pk_fma_f16 v2, v21, s10, v5 op_sel:[0,0,1] op_sel_hi:[1,0,0]
	v_pk_fma_f16 v7, v26, s22, v6 op_sel:[0,0,1] op_sel_hi:[1,0,0] neg_lo:[1,0,0] neg_hi:[1,0,0]
	v_pk_add_f16 v0, v2, v0
	v_pk_fma_f16 v2, v26, s22, v6 op_sel:[0,0,1] op_sel_hi:[1,0,0]
	v_fma_f16 v105, v29, s11, v104
	v_pk_add_f16 v1, v7, v1
	v_pk_add_f16 v0, v2, v0
	v_add_f16_e32 v99, v105, v99
	v_alignbit_b32 v2, v1, v0, 16
	v_alignbit_b32 v0, v0, v1, 16
	ds_write2_b32 v23, v0, v2 offset0:6 offset1:7
	v_pack_b32_f16 v0, v85, v78
	v_pack_b32_f16 v1, v99, v92
	s_mov_b32 s8, 0x5040100
	ds_write2_b32 v23, v1, v0 offset0:8 offset1:9
	v_pack_b32_f16 v0, v71, v64
	v_perm_b32 v1, v41, v28, s8
	ds_write2_b32 v23, v0, v1 offset0:10 offset1:11
	v_perm_b32 v0, v42, v25, s8
	ds_write_b32 v23, v0 offset:48
.LBB0_7:
	s_or_b64 exec, exec, s[4:5]
	s_load_dwordx4 s[8:11], s[2:3], 0x0
	s_movk_i32 s2, 0x4f
	v_mul_lo_u16_sdwa v0, v44, s2 dst_sel:DWORD dst_unused:UNUSED_PAD src0_sel:BYTE_0 src1_sel:DWORD
	v_lshrrev_b16_e32 v3, 10, v0
	v_mul_lo_u16_e32 v0, 13, v3
	v_sub_u16_e32 v0, v44, v0
	v_and_b32_e32 v20, 0xff, v0
	v_mul_u32_u24_e32 v0, 10, v20
	v_lshlrev_b32_e32 v0, 2, v0
	s_waitcnt lgkmcnt(0)
	s_barrier
	global_load_dwordx4 v[4:7], v0, s[14:15]
	global_load_dwordx4 v[8:11], v0, s[14:15] offset:16
	global_load_dwordx2 v[23:24], v0, s[14:15] offset:32
	ds_read2_b32 v[1:2], v43 offset1:104
	v_add_u32_e32 v12, 0x200, v43
	v_add_u32_e32 v0, 0x600, v43
	;; [unrolled: 1-line block ×4, first 2 shown]
	ds_read_b32 v21, v43 offset:4160
	ds_read2_b32 v[12:13], v12 offset0:80 offset1:184
	ds_read2_b32 v[14:15], v0 offset0:32 offset1:136
	;; [unrolled: 1-line block ×4, first 2 shown]
	s_waitcnt lgkmcnt(5)
	v_lshrrev_b32_e32 v26, 16, v2
	s_waitcnt lgkmcnt(3)
	v_lshrrev_b32_e32 v29, 16, v12
	v_lshrrev_b32_e32 v30, 16, v13
	s_waitcnt lgkmcnt(2)
	v_lshrrev_b32_e32 v31, 16, v14
	v_lshrrev_b32_e32 v32, 16, v15
	s_waitcnt lgkmcnt(1)
	v_lshrrev_b32_e32 v33, 16, v16
	v_lshrrev_b32_e32 v34, 16, v17
	s_waitcnt lgkmcnt(0)
	v_lshrrev_b32_e32 v35, 16, v18
	v_lshrrev_b32_e32 v27, 16, v21
	v_lshrrev_b32_e32 v36, 16, v19
	s_movk_i32 s4, 0x3abb
	s_movk_i32 s2, 0x36a6
	s_mov_b32 s3, 0xb08e
	s_mov_b32 s5, 0xb93d
	;; [unrolled: 1-line block ×3, first 2 shown]
	v_mul_u32_u24_e32 v3, 0x8f, v3
	s_waitcnt vmcnt(0)
	s_barrier
	v_add_u32_e32 v65, 0x400, v43
	v_mul_f16_sdwa v37, v26, v4 dst_sel:DWORD dst_unused:UNUSED_PAD src0_sel:DWORD src1_sel:WORD_1
	v_mul_f16_sdwa v38, v2, v4 dst_sel:DWORD dst_unused:UNUSED_PAD src0_sel:DWORD src1_sel:WORD_1
	;; [unrolled: 1-line block ×4, first 2 shown]
	v_fma_f16 v2, v2, v4, -v37
	v_fma_f16 v26, v26, v4, v38
	v_mul_f16_sdwa v46, v30, v6 dst_sel:DWORD dst_unused:UNUSED_PAD src0_sel:DWORD src1_sel:WORD_1
	v_mul_f16_sdwa v47, v13, v6 dst_sel:DWORD dst_unused:UNUSED_PAD src0_sel:DWORD src1_sel:WORD_1
	v_fma_f16 v12, v12, v5, -v39
	v_fma_f16 v29, v29, v5, v40
	v_add_f16_e32 v37, v1, v2
	v_add_f16_sdwa v38, v1, v26 dst_sel:DWORD dst_unused:UNUSED_PAD src0_sel:WORD_1 src1_sel:DWORD
	v_mul_f16_sdwa v48, v31, v7 dst_sel:DWORD dst_unused:UNUSED_PAD src0_sel:DWORD src1_sel:WORD_1
	v_mul_f16_sdwa v49, v14, v7 dst_sel:DWORD dst_unused:UNUSED_PAD src0_sel:DWORD src1_sel:WORD_1
	v_fma_f16 v13, v13, v6, -v46
	v_fma_f16 v30, v30, v6, v47
	v_add_f16_e32 v37, v37, v12
	v_add_f16_e32 v38, v38, v29
	v_mul_f16_sdwa v52, v32, v8 dst_sel:DWORD dst_unused:UNUSED_PAD src0_sel:DWORD src1_sel:WORD_1
	v_mul_f16_sdwa v53, v15, v8 dst_sel:DWORD dst_unused:UNUSED_PAD src0_sel:DWORD src1_sel:WORD_1
	v_fma_f16 v14, v14, v7, -v48
	v_fma_f16 v31, v31, v7, v49
	v_add_f16_e32 v37, v37, v13
	v_add_f16_e32 v38, v38, v30
	;; [unrolled: 6-line block ×5, first 2 shown]
	v_mul_f16_sdwa v60, v36, v23 dst_sel:DWORD dst_unused:UNUSED_PAD src0_sel:DWORD src1_sel:WORD_1
	v_mul_f16_sdwa v61, v19, v23 dst_sel:DWORD dst_unused:UNUSED_PAD src0_sel:DWORD src1_sel:WORD_1
	;; [unrolled: 1-line block ×4, first 2 shown]
	v_fma_f16 v18, v18, v11, -v58
	v_fma_f16 v35, v35, v11, v59
	v_add_f16_e32 v37, v37, v17
	v_add_f16_e32 v38, v38, v34
	v_fma_f16 v19, v19, v23, -v60
	v_fma_f16 v36, v36, v23, v61
	v_fma_f16 v21, v21, v24, -v62
	v_fma_f16 v27, v27, v24, v63
	v_add_f16_e32 v37, v37, v18
	v_add_f16_e32 v38, v38, v35
	;; [unrolled: 1-line block ×4, first 2 shown]
	v_sub_f16_e32 v2, v2, v21
	v_sub_f16_e32 v26, v26, v27
	v_add_f16_e32 v37, v37, v19
	v_add_f16_e32 v38, v38, v36
	v_mul_f16_e32 v46, 0xb853, v26
	v_add_f16_e32 v21, v37, v21
	v_add_f16_e32 v37, v38, v27
	v_mul_f16_e32 v38, 0xb853, v2
	v_mul_f16_e32 v48, 0xbb47, v26
	;; [unrolled: 1-line block ×9, first 2 shown]
	v_fma_f16 v27, v39, s4, -v46
	v_fma_f16 v47, v40, s4, v38
	v_fma_f16 v46, v39, s4, v46
	v_fma_f16 v38, v40, s4, -v38
	v_fma_f16 v49, v39, s2, -v48
	v_fma_f16 v53, v40, s2, v52
	v_fma_f16 v48, v39, s2, v48
	v_fma_f16 v52, v40, s2, -v52
	;; [unrolled: 4-line block ×5, first 2 shown]
	v_add_f16_e32 v27, v1, v27
	v_add_f16_sdwa v47, v1, v47 dst_sel:DWORD dst_unused:UNUSED_PAD src0_sel:WORD_1 src1_sel:DWORD
	v_add_f16_e32 v46, v1, v46
	v_add_f16_sdwa v38, v1, v38 dst_sel:DWORD dst_unused:UNUSED_PAD src0_sel:WORD_1 src1_sel:DWORD
	;; [unrolled: 2-line block ×10, first 2 shown]
	v_add_f16_e32 v2, v12, v19
	v_sub_f16_e32 v12, v12, v19
	v_sub_f16_e32 v19, v29, v36
	v_add_f16_e32 v39, v29, v36
	v_mul_f16_e32 v29, 0xbb47, v19
	v_fma_f16 v36, v2, s2, -v29
	v_add_f16_e32 v27, v36, v27
	v_mul_f16_e32 v36, 0xbb47, v12
	v_fma_f16 v40, v39, s2, v36
	v_fma_f16 v36, v39, s2, -v36
	v_fma_f16 v29, v2, s2, v29
	v_add_f16_e32 v36, v36, v38
	v_mul_f16_e32 v38, 0xba0c, v19
	v_add_f16_e32 v40, v40, v47
	v_add_f16_e32 v29, v29, v46
	v_fma_f16 v46, v2, s5, -v38
	v_mul_f16_e32 v47, 0xba0c, v12
	v_fma_f16 v38, v2, s5, v38
	v_add_f16_e32 v46, v46, v49
	v_fma_f16 v49, v39, s5, v47
	v_add_f16_e32 v38, v38, v48
	v_fma_f16 v47, v39, s5, -v47
	v_mul_f16_e32 v48, 0x3482, v19
	v_add_f16_e32 v49, v49, v53
	v_add_f16_e32 v47, v47, v52
	v_fma_f16 v52, v2, s16, -v48
	v_mul_f16_e32 v53, 0x3482, v12
	v_fma_f16 v48, v2, s16, v48
	v_add_f16_e32 v52, v52, v55
	v_fma_f16 v55, v39, s16, v53
	v_add_f16_e32 v48, v48, v54
	v_fma_f16 v53, v39, s16, -v53
	v_mul_f16_e32 v54, 0x3beb, v19
	v_add_f16_e32 v55, v55, v57
	v_add_f16_e32 v53, v53, v56
	v_fma_f16 v56, v2, s3, -v54
	v_mul_f16_e32 v57, 0x3beb, v12
	v_add_f16_e32 v56, v56, v59
	v_fma_f16 v59, v39, s3, v57
	v_fma_f16 v57, v39, s3, -v57
	v_mul_f16_e32 v12, 0x3853, v12
	v_fma_f16 v54, v2, s3, v54
	v_add_f16_e32 v57, v57, v60
	v_mul_f16_e32 v19, 0x3853, v19
	v_fma_f16 v60, v39, s4, v12
	v_fma_f16 v12, v39, s4, -v12
	v_add_f16_e32 v54, v54, v58
	v_fma_f16 v58, v2, s4, -v19
	v_fma_f16 v2, v2, s4, v19
	v_add_f16_e32 v1, v12, v1
	v_add_f16_e32 v12, v13, v18
	v_sub_f16_e32 v13, v13, v18
	v_sub_f16_e32 v18, v30, v35
	v_add_f16_e32 v2, v2, v26
	v_mul_f16_e32 v26, 0xbbeb, v18
	v_add_f16_e32 v19, v30, v35
	v_fma_f16 v30, v12, s3, -v26
	v_add_f16_e32 v27, v30, v27
	v_mul_f16_e32 v30, 0xbbeb, v13
	v_fma_f16 v26, v12, s3, v26
	v_fma_f16 v35, v19, s3, v30
	v_add_f16_e32 v26, v26, v29
	v_fma_f16 v29, v19, s3, -v30
	v_mul_f16_e32 v30, 0x3482, v18
	v_add_f16_e32 v29, v29, v36
	v_fma_f16 v36, v12, s16, -v30
	v_mul_f16_e32 v39, 0x3482, v13
	v_fma_f16 v30, v12, s16, v30
	v_add_f16_e32 v35, v35, v40
	v_fma_f16 v40, v19, s16, v39
	v_add_f16_e32 v30, v30, v38
	v_fma_f16 v38, v19, s16, -v39
	v_mul_f16_e32 v39, 0x3b47, v18
	v_add_f16_e32 v36, v36, v46
	v_fma_f16 v46, v12, s2, -v39
	v_fma_f16 v39, v12, s2, v39
	v_add_f16_e32 v38, v38, v47
	v_mul_f16_e32 v47, 0x3b47, v13
	v_add_f16_e32 v39, v39, v48
	v_mul_f16_e32 v48, 0xb853, v18
	v_add_f16_e32 v40, v40, v49
	v_add_f16_e32 v46, v46, v52
	v_fma_f16 v49, v19, s2, v47
	v_fma_f16 v47, v19, s2, -v47
	v_fma_f16 v52, v12, s4, -v48
	v_fma_f16 v48, v12, s4, v48
	v_mul_f16_e32 v18, 0xba0c, v18
	v_add_f16_e32 v47, v47, v53
	v_mul_f16_e32 v53, 0xb853, v13
	v_add_f16_e32 v48, v48, v54
	v_fma_f16 v54, v12, s5, -v18
	v_mul_f16_e32 v13, 0xba0c, v13
	v_fma_f16 v12, v12, s5, v18
	v_add_f16_e32 v2, v12, v2
	v_fma_f16 v12, v19, s5, -v13
	v_add_f16_e32 v1, v12, v1
	v_add_f16_e32 v12, v14, v17
	v_sub_f16_e32 v14, v14, v17
	v_sub_f16_e32 v17, v31, v34
	v_mul_f16_e32 v18, 0xba0c, v17
	v_add_f16_e32 v49, v49, v55
	v_add_f16_e32 v52, v52, v56
	v_fma_f16 v55, v19, s4, v53
	v_fma_f16 v53, v19, s4, -v53
	v_fma_f16 v56, v19, s5, v13
	v_fma_f16 v19, v12, s5, -v18
	v_add_f16_e32 v13, v31, v34
	v_add_f16_e32 v19, v19, v27
	v_mul_f16_e32 v27, 0xba0c, v14
	v_fma_f16 v18, v12, s5, v18
	v_fma_f16 v31, v13, s5, v27
	v_add_f16_e32 v18, v18, v26
	v_fma_f16 v26, v13, s5, -v27
	v_mul_f16_e32 v27, 0x3beb, v17
	v_add_f16_e32 v26, v26, v29
	v_fma_f16 v29, v12, s3, -v27
	v_mul_f16_e32 v34, 0x3beb, v14
	v_fma_f16 v27, v12, s3, v27
	v_add_f16_e32 v30, v27, v30
	v_fma_f16 v27, v13, s3, -v34
	v_add_f16_e32 v31, v31, v35
	v_fma_f16 v35, v13, s3, v34
	v_add_f16_e32 v34, v27, v38
	v_mul_f16_e32 v27, 0xb853, v17
	v_add_f16_e32 v29, v29, v36
	v_fma_f16 v36, v12, s4, -v27
	v_mul_f16_e32 v38, 0xb853, v14
	v_fma_f16 v27, v12, s4, v27
	v_add_f16_e32 v39, v27, v39
	v_fma_f16 v27, v13, s4, -v38
	v_add_f16_e32 v59, v59, v61
	v_add_f16_e32 v35, v35, v40
	v_fma_f16 v40, v13, s4, v38
	v_add_f16_e32 v38, v27, v47
	v_mul_f16_e32 v27, 0xb482, v17
	v_mul_f16_e32 v47, 0xb482, v14
	v_add_f16_e32 v55, v55, v59
	v_add_f16_e32 v36, v36, v46
	v_add_f16_e32 v40, v40, v49
	v_fma_f16 v46, v12, s16, -v27
	v_fma_f16 v49, v13, s16, v47
	v_fma_f16 v27, v12, s16, v27
	v_add_f16_e32 v53, v53, v57
	v_add_f16_e32 v46, v46, v52
	;; [unrolled: 1-line block ×4, first 2 shown]
	v_fma_f16 v27, v13, s16, -v47
	v_mul_f16_e32 v17, 0x3b47, v17
	v_add_f16_e32 v58, v58, v62
	v_add_f16_e32 v53, v27, v53
	v_fma_f16 v27, v12, s2, -v17
	v_mul_f16_e32 v14, 0x3b47, v14
	v_fma_f16 v12, v12, s2, v17
	v_add_f16_e32 v54, v54, v58
	v_add_f16_e32 v2, v12, v2
	v_fma_f16 v12, v13, s2, -v14
	v_add_f16_e32 v54, v27, v54
	v_fma_f16 v27, v13, s2, v14
	v_add_f16_e32 v1, v12, v1
	v_add_f16_e32 v12, v15, v16
	v_sub_f16_e32 v14, v15, v16
	v_sub_f16_e32 v15, v32, v33
	v_mul_f16_e32 v16, 0xb482, v15
	v_add_f16_e32 v60, v60, v63
	v_fma_f16 v17, v12, s16, -v16
	v_add_f16_e32 v56, v56, v60
	v_add_f16_e32 v13, v32, v33
	;; [unrolled: 1-line block ×3, first 2 shown]
	v_mul_f16_e32 v19, 0xb482, v14
	v_add_f16_e32 v56, v27, v56
	v_fma_f16 v27, v13, s16, v19
	v_fma_f16 v16, v12, s16, v16
	v_add_f16_e32 v31, v27, v31
	v_add_f16_e32 v27, v16, v18
	v_fma_f16 v16, v13, s16, -v19
	v_add_f16_e32 v48, v16, v26
	v_mul_f16_e32 v16, 0x3853, v15
	v_fma_f16 v18, v12, s4, -v16
	v_mul_f16_e32 v19, 0x3853, v14
	v_fma_f16 v16, v12, s4, v16
	v_add_f16_e32 v30, v16, v30
	v_fma_f16 v16, v13, s4, -v19
	v_add_f16_e32 v49, v16, v34
	v_mul_f16_e32 v16, 0xba0c, v15
	v_mul_f16_e32 v32, 0xba0c, v14
	v_add_f16_e32 v18, v18, v29
	v_fma_f16 v26, v13, s4, v19
	v_fma_f16 v19, v12, s5, -v16
	v_fma_f16 v29, v13, s5, v32
	v_fma_f16 v16, v12, s5, v16
	v_add_f16_e32 v33, v29, v40
	v_add_f16_e32 v29, v16, v39
	v_fma_f16 v16, v13, s5, -v32
	v_add_f16_e32 v47, v16, v38
	v_mul_f16_e32 v16, 0x3b47, v15
	v_mul_f16_e32 v15, 0xbbeb, v15
	v_add_f16_e32 v19, v19, v36
	v_fma_f16 v32, v12, s2, -v16
	v_mul_f16_e32 v34, 0x3b47, v14
	v_fma_f16 v16, v12, s2, v16
	v_fma_f16 v36, v12, s3, -v15
	v_mul_f16_e32 v14, 0xbbeb, v14
	v_fma_f16 v12, v12, s3, v15
	v_add_f16_e32 v26, v26, v35
	v_fma_f16 v35, v13, s2, v34
	v_fma_f16 v34, v13, s2, -v34
	v_add_f16_e32 v2, v12, v2
	v_fma_f16 v12, v13, s3, -v14
	v_add_f16_e32 v16, v16, v55
	v_add_f16_e32 v34, v34, v53
	;; [unrolled: 1-line block ×4, first 2 shown]
	v_fma_f16 v38, v13, s3, v14
	v_add_lshl_u32 v46, v3, v20, 2
	v_pack_b32_f16 v3, v21, v37
	v_pack_b32_f16 v12, v17, v31
	;; [unrolled: 1-line block ×4, first 2 shown]
	v_add_f16_e32 v35, v35, v52
	v_add_f16_e32 v36, v36, v54
	;; [unrolled: 1-line block ×3, first 2 shown]
	ds_write2_b32 v46, v3, v12 offset1:13
	v_pack_b32_f16 v3, v18, v26
	v_pack_b32_f16 v12, v19, v33
	ds_write2_b32 v46, v1, v2 offset0:78 offset1:91
	v_pack_b32_f16 v1, v29, v47
	v_pack_b32_f16 v2, v30, v49
	ds_write2_b32 v46, v3, v12 offset0:26 offset1:39
	;; [unrolled: 3-line block ×3, first 2 shown]
	v_pack_b32_f16 v1, v27, v48
	ds_write2_b32 v46, v3, v12 offset0:52 offset1:65
	ds_write_b32 v46, v1 offset:520
	s_waitcnt lgkmcnt(0)
	s_barrier
	ds_read2_b32 v[31:32], v43 offset1:143
	ds_read2_b32 v[37:38], v65 offset0:30 offset1:173
	ds_read2_b32 v[35:36], v51 offset0:60 offset1:203
	;; [unrolled: 1-line block ×3, first 2 shown]
	v_cmp_gt_u16_e64 s[2:3], 39, v44
                                        ; implicit-def: $vgpr40
                                        ; implicit-def: $vgpr52
                                        ; implicit-def: $vgpr53
                                        ; implicit-def: $vgpr54
	s_and_saveexec_b64 s[4:5], s[2:3]
	s_cbranch_execz .LBB0_9
; %bb.8:
	ds_read2_b32 v[29:30], v43 offset0:104 offset1:247
	ds_read2_b32 v[27:28], v0 offset0:6 offset1:149
	v_add_u32_e32 v0, 0xa00, v43
	ds_read2_b32 v[25:26], v0 offset0:36 offset1:179
	v_add_u32_e32 v0, 0xe00, v43
	ds_read2_b32 v[39:40], v0 offset0:66 offset1:209
	s_waitcnt lgkmcnt(3)
	v_lshrrev_b32_e32 v47, 16, v29
	v_lshrrev_b32_e32 v49, 16, v30
	s_waitcnt lgkmcnt(2)
	v_lshrrev_b32_e32 v48, 16, v27
	v_lshrrev_b32_e32 v41, 16, v28
	;; [unrolled: 3-line block ×4, first 2 shown]
.LBB0_9:
	s_or_b64 exec, exec, s[4:5]
	v_mad_u64_u32 v[0:1], s[4:5], v44, 28, s[14:15]
	v_add_u32_e32 v2, 0x68, v44
	v_subrev_u32_e32 v3, 39, v44
	v_cndmask_b32_e64 v2, v3, v2, s[2:3]
	global_load_dwordx4 v[12:15], v[0:1], off offset:520
	global_load_dwordx3 v[19:21], v[0:1], off offset:536
	v_mul_i32_i24_e32 v0, 28, v2
	v_mov_b32_e32 v16, s15
	v_mul_hi_i32_i24_e32 v3, 28, v2
	v_add_co_u32_e32 v55, vcc, s14, v0
	v_addc_co_u32_e32 v56, vcc, v16, v3, vcc
	global_load_dwordx4 v[0:3], v[55:56], off offset:520
	global_load_dwordx3 v[16:18], v[55:56], off offset:536
	s_waitcnt lgkmcnt(2)
	v_lshrrev_b32_e32 v57, 16, v37
	s_waitcnt lgkmcnt(1)
	v_lshrrev_b32_e32 v59, 16, v35
	;; [unrolled: 2-line block ×3, first 2 shown]
	v_lshrrev_b32_e32 v55, 16, v31
	v_lshrrev_b32_e32 v56, 16, v32
	;; [unrolled: 1-line block ×5, first 2 shown]
	s_mov_b32 s4, 0xb9a8
	s_movk_i32 s5, 0x39a8
	s_waitcnt vmcnt(3)
	v_mul_f16_sdwa v67, v37, v13 dst_sel:DWORD dst_unused:UNUSED_PAD src0_sel:DWORD src1_sel:WORD_1
	v_mul_f16_sdwa v71, v35, v15 dst_sel:DWORD dst_unused:UNUSED_PAD src0_sel:DWORD src1_sel:WORD_1
	s_waitcnt vmcnt(2)
	v_mul_f16_sdwa v75, v33, v20 dst_sel:DWORD dst_unused:UNUSED_PAD src0_sel:DWORD src1_sel:WORD_1
	v_mul_f16_sdwa v64, v32, v12 dst_sel:DWORD dst_unused:UNUSED_PAD src0_sel:DWORD src1_sel:WORD_1
	;; [unrolled: 1-line block ×8, first 2 shown]
	s_waitcnt vmcnt(0)
	v_mul_f16_sdwa v89, v39, v17 dst_sel:DWORD dst_unused:UNUSED_PAD src0_sel:DWORD src1_sel:WORD_1
	v_mul_f16_sdwa v91, v40, v18 dst_sel:DWORD dst_unused:UNUSED_PAD src0_sel:DWORD src1_sel:WORD_1
	v_fma_f16 v57, v57, v13, v67
	v_fma_f16 v59, v59, v15, v71
	;; [unrolled: 1-line block ×3, first 2 shown]
	v_mul_f16_sdwa v63, v56, v12 dst_sel:DWORD dst_unused:UNUSED_PAD src0_sel:DWORD src1_sel:WORD_1
	v_mul_f16_sdwa v68, v58, v14 dst_sel:DWORD dst_unused:UNUSED_PAD src0_sel:DWORD src1_sel:WORD_1
	;; [unrolled: 1-line block ×7, first 2 shown]
	v_fma_f16 v56, v56, v12, v64
	v_fma_f16 v37, v37, v13, -v66
	v_fma_f16 v58, v58, v14, v69
	v_fma_f16 v60, v60, v19, v73
	;; [unrolled: 1-line block ×5, first 2 shown]
	v_sub_f16_e32 v52, v55, v59
	v_sub_f16_e32 v53, v57, v61
	v_mul_f16_sdwa v86, v54, v16 dst_sel:DWORD dst_unused:UNUSED_PAD src0_sel:DWORD src1_sel:WORD_1
	v_fma_f16 v32, v32, v12, -v63
	v_fma_f16 v35, v35, v15, -v70
	;; [unrolled: 1-line block ×3, first 2 shown]
	v_fma_f16 v63, v54, v16, v87
	v_fma_f16 v54, v55, 2.0, -v52
	v_fma_f16 v55, v57, 2.0, -v53
	v_sub_f16_e32 v57, v56, v60
	v_sub_f16_e32 v59, v58, v62
	v_fma_f16 v38, v38, v14, -v68
	v_fma_f16 v36, v36, v19, -v72
	;; [unrolled: 1-line block ×3, first 2 shown]
	v_sub_f16_e32 v35, v31, v35
	v_sub_f16_e32 v33, v37, v33
	v_fma_f16 v56, v56, 2.0, -v57
	v_fma_f16 v58, v58, 2.0, -v59
	;; [unrolled: 1-line block ×4, first 2 shown]
	v_sub_f16_e32 v36, v32, v36
	v_sub_f16_e32 v34, v38, v34
	;; [unrolled: 1-line block ×3, first 2 shown]
	v_add_f16_e32 v67, v52, v33
	v_sub_f16_e32 v58, v56, v58
	v_fma_f16 v32, v32, 2.0, -v36
	v_fma_f16 v38, v38, 2.0, -v34
	v_sub_f16_e32 v60, v31, v37
	v_fma_f16 v37, v54, 2.0, -v61
	v_fma_f16 v54, v52, 2.0, -v67
	;; [unrolled: 1-line block ×3, first 2 shown]
	v_add_f16_e32 v68, v57, v34
	v_sub_f16_e32 v62, v35, v53
	v_sub_f16_e32 v38, v32, v38
	;; [unrolled: 1-line block ×3, first 2 shown]
	v_fma_f16 v34, v57, 2.0, -v68
	v_sub_f16_e32 v53, v37, v52
	v_fma_f16 v31, v31, 2.0, -v60
	v_fma_f16 v35, v35, 2.0, -v62
	;; [unrolled: 1-line block ×5, first 2 shown]
	v_fma_f16 v37, v34, s4, v54
	v_mul_f16_sdwa v78, v49, v0 dst_sel:DWORD dst_unused:UNUSED_PAD src0_sel:DWORD src1_sel:WORD_1
	v_mul_f16_sdwa v79, v30, v0 dst_sel:DWORD dst_unused:UNUSED_PAD src0_sel:DWORD src1_sel:WORD_1
	;; [unrolled: 1-line block ×6, first 2 shown]
	v_sub_f16_e32 v33, v31, v32
	v_fma_f16 v32, v36, s4, v35
	v_fma_f16 v55, v36, s5, v37
	v_fma_f16 v36, v59, s5, v62
	v_mul_f16_sdwa v81, v27, v1 dst_sel:DWORD dst_unused:UNUSED_PAD src0_sel:DWORD src1_sel:WORD_1
	v_mul_f16_sdwa v85, v25, v3 dst_sel:DWORD dst_unused:UNUSED_PAD src0_sel:DWORD src1_sel:WORD_1
	v_fma_f16 v30, v30, v0, -v78
	v_fma_f16 v49, v49, v0, v79
	v_fma_f16 v27, v27, v1, -v80
	v_fma_f16 v28, v28, v2, -v82
	v_fma_f16 v41, v41, v2, v83
	v_fma_f16 v25, v25, v3, -v84
	v_fma_f16 v26, v26, v16, -v86
	;; [unrolled: 1-line block ×4, first 2 shown]
	v_add_f16_e32 v56, v61, v38
	v_fma_f16 v38, v68, s4, v36
	v_fma_f16 v57, v61, 2.0, -v56
	v_fma_f16 v36, v62, 2.0, -v38
	v_sub_f16_e32 v25, v29, v25
	v_sub_f16_e32 v39, v27, v39
	;; [unrolled: 1-line block ×6, first 2 shown]
	v_fma_f16 v48, v48, v1, v81
	v_fma_f16 v42, v42, v3, v85
	;; [unrolled: 1-line block ×3, first 2 shown]
	v_sub_f16_e32 v37, v60, v58
	v_fma_f16 v29, v29, 2.0, -v25
	v_fma_f16 v27, v27, 2.0, -v39
	;; [unrolled: 1-line block ×8, first 2 shown]
	v_fma_f16 v58, v68, s5, v67
	v_sub_f16_e32 v42, v47, v42
	v_sub_f16_e32 v60, v48, v64
	v_sub_f16_e32 v63, v29, v27
	v_sub_f16_e32 v28, v30, v28
	v_sub_f16_e32 v41, v49, v41
	v_fma_f16 v59, v59, s5, v58
	v_fma_f16 v47, v47, 2.0, -v42
	v_fma_f16 v48, v48, 2.0, -v60
	v_fma_f16 v27, v29, 2.0, -v63
	v_sub_f16_e32 v66, v25, v60
	v_fma_f16 v29, v30, 2.0, -v28
	v_fma_f16 v30, v49, 2.0, -v41
	v_sub_f16_e32 v49, v26, v62
	v_add_f16_e32 v68, v61, v40
	v_fma_f16 v58, v67, 2.0, -v59
	v_sub_f16_e32 v64, v47, v48
	v_add_f16_e32 v67, v42, v39
	v_fma_f16 v25, v25, 2.0, -v66
	v_fma_f16 v40, v26, 2.0, -v49
	;; [unrolled: 1-line block ×3, first 2 shown]
	v_sub_f16_e32 v61, v27, v29
	v_fma_f16 v47, v47, 2.0, -v64
	v_fma_f16 v42, v42, 2.0, -v67
	;; [unrolled: 1-line block ×3, first 2 shown]
	v_fma_f16 v27, v40, s4, v25
	v_sub_f16_e32 v29, v47, v30
	v_fma_f16 v30, v26, s4, v42
	v_fma_f16 v26, v26, s4, v27
	v_fma_f16 v31, v31, 2.0, -v33
	v_fma_f16 v54, v54, 2.0, -v55
	v_fma_f16 v48, v40, s5, v30
	v_fma_f16 v40, v25, 2.0, -v26
	v_fma_f16 v25, v49, s5, v66
	v_fma_f16 v30, v68, s5, v67
	v_fma_f16 v60, v47, 2.0, -v29
	v_add_f16_e32 v47, v64, v28
	v_fma_f16 v28, v68, s4, v25
	v_fma_f16 v49, v49, s5, v30
	v_pack_b32_f16 v25, v31, v52
	v_pack_b32_f16 v30, v32, v54
	ds_write2_b32 v43, v25, v30 offset1:143
	v_pack_b32_f16 v25, v35, v57
	v_pack_b32_f16 v30, v36, v58
	v_sub_f16_e32 v27, v63, v41
	ds_write2_b32 v65, v25, v30 offset0:30 offset1:173
	v_pack_b32_f16 v25, v33, v53
	v_pack_b32_f16 v30, v34, v55
	v_fma_f16 v62, v42, 2.0, -v48
	v_fma_f16 v41, v63, 2.0, -v27
	;; [unrolled: 1-line block ×5, first 2 shown]
	ds_write2_b32 v51, v25, v30 offset0:60 offset1:203
	v_pack_b32_f16 v25, v37, v56
	v_pack_b32_f16 v30, v38, v59
	ds_write2_b32 v50, v25, v30 offset0:90 offset1:233
	s_and_saveexec_b64 s[4:5], s[2:3]
	s_cbranch_execz .LBB0_11
; %bb.10:
	s_mov_b32 s14, 0x5040100
	v_perm_b32 v25, v60, v39, s14
	v_perm_b32 v30, v62, v40, s14
	ds_write2_b32 v43, v25, v30 offset0:104 offset1:247
	v_perm_b32 v25, v63, v41, s14
	v_perm_b32 v30, v64, v42, s14
	v_add_u32_e32 v50, 0x600, v43
	ds_write2_b32 v50, v25, v30 offset0:6 offset1:149
	v_perm_b32 v25, v29, v61, s14
	v_perm_b32 v30, v48, v26, s14
	v_add_u32_e32 v50, 0xa00, v43
	;; [unrolled: 4-line block ×3, first 2 shown]
	ds_write2_b32 v50, v25, v30 offset0:66 offset1:209
.LBB0_11:
	s_or_b64 exec, exec, s[4:5]
	s_waitcnt lgkmcnt(0)
	s_barrier
	s_and_saveexec_b64 s[4:5], s[0:1]
	s_cbranch_execz .LBB0_13
; %bb.12:
	v_mov_b32_e32 v25, s7
	v_add_co_u32_e32 v30, vcc, s6, v43
	v_addc_co_u32_e32 v25, vcc, 0, v25, vcc
	v_add_co_u32_e32 v50, vcc, 0x11e0, v30
	v_addc_co_u32_e32 v51, vcc, 0, v25, vcc
	;; [unrolled: 2-line block ×3, first 2 shown]
	global_load_dword v67, v[65:66], off offset:480
	global_load_dword v73, v[50:51], off offset:352
	;; [unrolled: 1-line block ×11, first 2 shown]
	v_add_co_u32_e32 v65, vcc, 0x2000, v30
	v_addc_co_u32_e32 v66, vcc, 0, v25, vcc
	ds_read_b32 v68, v43
	global_load_dword v30, v[65:66], off offset:608
	global_load_dword v87, v[50:51], off offset:3872
	v_add_u32_e32 v82, 0x400, v43
	v_add_u32_e32 v83, 0x600, v43
	v_add_u32_e32 v84, 0x800, v43
	s_waitcnt lgkmcnt(0)
	v_lshrrev_b32_e32 v25, 16, v68
	v_add_u32_e32 v86, 0xc00, v43
	s_waitcnt vmcnt(12)
	v_mul_f16_sdwa v50, v25, v67 dst_sel:DWORD dst_unused:UNUSED_PAD src0_sel:DWORD src1_sel:WORD_1
	v_mul_f16_sdwa v51, v68, v67 dst_sel:DWORD dst_unused:UNUSED_PAD src0_sel:DWORD src1_sel:WORD_1
	v_fma_f16 v50, v68, v67, -v50
	v_fma_f16 v25, v25, v67, v51
	v_pack_b32_f16 v25, v50, v25
	ds_write_b32 v43, v25
	ds_read2_b32 v[50:51], v43 offset0:88 offset1:176
	ds_read2_b32 v[65:66], v82 offset0:8 offset1:96
	;; [unrolled: 1-line block ×5, first 2 shown]
	s_waitcnt lgkmcnt(4)
	v_lshrrev_b32_e32 v25, 16, v50
	s_waitcnt vmcnt(11)
	v_mul_f16_sdwa v88, v50, v73 dst_sel:DWORD dst_unused:UNUSED_PAD src0_sel:DWORD src1_sel:WORD_1
	v_lshrrev_b32_e32 v89, 16, v51
	s_waitcnt vmcnt(10)
	v_mul_f16_sdwa v90, v51, v74 dst_sel:DWORD dst_unused:UNUSED_PAD src0_sel:DWORD src1_sel:WORD_1
	s_waitcnt lgkmcnt(3)
	v_lshrrev_b32_e32 v91, 16, v65
	s_waitcnt vmcnt(9)
	v_mul_f16_sdwa v92, v65, v75 dst_sel:DWORD dst_unused:UNUSED_PAD src0_sel:DWORD src1_sel:WORD_1
	v_lshrrev_b32_e32 v93, 16, v66
	s_waitcnt vmcnt(8)
	v_mul_f16_sdwa v94, v66, v76 dst_sel:DWORD dst_unused:UNUSED_PAD src0_sel:DWORD src1_sel:WORD_1
	s_waitcnt lgkmcnt(2)
	v_lshrrev_b32_e32 v95, 16, v67
	s_waitcnt vmcnt(7)
	v_mul_f16_sdwa v96, v67, v77 dst_sel:DWORD dst_unused:UNUSED_PAD src0_sel:DWORD src1_sel:WORD_1
	v_lshrrev_b32_e32 v97, 16, v68
	v_mul_f16_sdwa v102, v25, v73 dst_sel:DWORD dst_unused:UNUSED_PAD src0_sel:DWORD src1_sel:WORD_1
	v_fma_f16 v25, v25, v73, v88
	v_mul_f16_sdwa v88, v89, v74 dst_sel:DWORD dst_unused:UNUSED_PAD src0_sel:DWORD src1_sel:WORD_1
	s_waitcnt vmcnt(6)
	v_mul_f16_sdwa v98, v68, v78 dst_sel:DWORD dst_unused:UNUSED_PAD src0_sel:DWORD src1_sel:WORD_1
	v_fma_f16 v89, v89, v74, v90
	v_mul_f16_sdwa v90, v91, v75 dst_sel:DWORD dst_unused:UNUSED_PAD src0_sel:DWORD src1_sel:WORD_1
	v_fma_f16 v91, v91, v75, v92
	v_mul_f16_sdwa v92, v93, v76 dst_sel:DWORD dst_unused:UNUSED_PAD src0_sel:DWORD src1_sel:WORD_1
	v_fma_f16 v93, v93, v76, v94
	v_mul_f16_sdwa v94, v95, v77 dst_sel:DWORD dst_unused:UNUSED_PAD src0_sel:DWORD src1_sel:WORD_1
	v_fma_f16 v95, v95, v77, v96
	v_mul_f16_sdwa v96, v97, v78 dst_sel:DWORD dst_unused:UNUSED_PAD src0_sel:DWORD src1_sel:WORD_1
	v_fma_f16 v50, v50, v73, -v102
	v_fma_f16 v51, v51, v74, -v88
	s_waitcnt lgkmcnt(1)
	v_lshrrev_b32_e32 v99, 16, v69
	s_waitcnt vmcnt(5)
	v_mul_f16_sdwa v100, v69, v79 dst_sel:DWORD dst_unused:UNUSED_PAD src0_sel:DWORD src1_sel:WORD_1
	v_lshrrev_b32_e32 v101, 16, v70
	v_fma_f16 v97, v97, v78, v98
	v_fma_f16 v65, v65, v75, -v90
	v_fma_f16 v66, v66, v76, -v92
	;; [unrolled: 1-line block ×4, first 2 shown]
	v_pack_b32_f16 v25, v50, v25
	v_pack_b32_f16 v50, v51, v89
	v_mul_f16_sdwa v98, v99, v79 dst_sel:DWORD dst_unused:UNUSED_PAD src0_sel:DWORD src1_sel:WORD_1
	v_fma_f16 v99, v99, v79, v100
	s_waitcnt vmcnt(4)
	v_mul_f16_sdwa v100, v101, v80 dst_sel:DWORD dst_unused:UNUSED_PAD src0_sel:DWORD src1_sel:WORD_1
	v_pack_b32_f16 v51, v65, v91
	v_pack_b32_f16 v65, v66, v93
	v_pack_b32_f16 v66, v67, v95
	v_pack_b32_f16 v67, v68, v97
	ds_write2_b32 v43, v25, v50 offset0:88 offset1:176
	ds_write2_b32 v82, v51, v65 offset0:8 offset1:96
	;; [unrolled: 1-line block ×3, first 2 shown]
	v_mul_f16_sdwa v25, v70, v80 dst_sel:DWORD dst_unused:UNUSED_PAD src0_sel:DWORD src1_sel:WORD_1
	v_fma_f16 v69, v69, v79, -v98
	v_fma_f16 v73, v70, v80, -v100
	v_fma_f16 v25, v101, v80, v25
	v_pack_b32_f16 v68, v69, v99
	v_pack_b32_f16 v25, v73, v25
	ds_write2_b32 v84, v68, v25 offset0:104 offset1:192
	s_waitcnt lgkmcnt(4)
	v_lshrrev_b32_e32 v25, 16, v71
	s_waitcnt vmcnt(3)
	v_mul_f16_sdwa v50, v25, v81 dst_sel:DWORD dst_unused:UNUSED_PAD src0_sel:DWORD src1_sel:WORD_1
	v_mul_f16_sdwa v51, v71, v81 dst_sel:DWORD dst_unused:UNUSED_PAD src0_sel:DWORD src1_sel:WORD_1
	v_fma_f16 v50, v71, v81, -v50
	v_fma_f16 v25, v25, v81, v51
	v_lshrrev_b32_e32 v65, 16, v72
	v_pack_b32_f16 v25, v50, v25
	s_waitcnt vmcnt(2)
	v_mul_f16_sdwa v50, v65, v85 dst_sel:DWORD dst_unused:UNUSED_PAD src0_sel:DWORD src1_sel:WORD_1
	v_add_u32_e32 v67, 0xe00, v43
	v_fma_f16 v66, v72, v85, -v50
	ds_read2_b32 v[50:51], v67 offset0:72 offset1:160
	v_mul_f16_sdwa v68, v72, v85 dst_sel:DWORD dst_unused:UNUSED_PAD src0_sel:DWORD src1_sel:WORD_1
	v_fma_f16 v65, v65, v85, v68
	v_pack_b32_f16 v65, v66, v65
	ds_write2_b32 v86, v25, v65 offset0:24 offset1:112
	s_waitcnt lgkmcnt(1)
	v_lshrrev_b32_e32 v25, 16, v50
	s_waitcnt vmcnt(0)
	v_mul_f16_sdwa v65, v25, v87 dst_sel:DWORD dst_unused:UNUSED_PAD src0_sel:DWORD src1_sel:WORD_1
	v_fma_f16 v65, v50, v87, -v65
	v_mul_f16_sdwa v50, v50, v87 dst_sel:DWORD dst_unused:UNUSED_PAD src0_sel:DWORD src1_sel:WORD_1
	v_fma_f16 v25, v25, v87, v50
	v_lshrrev_b32_e32 v50, 16, v51
	v_pack_b32_f16 v25, v65, v25
	v_mul_f16_sdwa v65, v50, v30 dst_sel:DWORD dst_unused:UNUSED_PAD src0_sel:DWORD src1_sel:WORD_1
	v_fma_f16 v65, v51, v30, -v65
	v_mul_f16_sdwa v51, v51, v30 dst_sel:DWORD dst_unused:UNUSED_PAD src0_sel:DWORD src1_sel:WORD_1
	v_fma_f16 v30, v50, v30, v51
	v_pack_b32_f16 v30, v65, v30
	ds_write2_b32 v67, v25, v30 offset0:72 offset1:160
.LBB0_13:
	s_or_b64 exec, exec, s[4:5]
	s_waitcnt lgkmcnt(0)
	s_barrier
	s_and_saveexec_b64 s[4:5], s[0:1]
	s_cbranch_execz .LBB0_15
; %bb.14:
	v_add_u32_e32 v25, 0x200, v43
	ds_read2_b32 v[35:36], v25 offset0:48 offset1:136
	v_add_u32_e32 v25, 0x800, v43
	ds_read2_b32 v[37:38], v25 offset0:16 offset1:104
	v_add_u32_e32 v25, 0xa00, v43
	v_add_u32_e32 v29, 0x400, v43
	ds_read2_b32 v[39:40], v25 offset0:64 offset1:152
	v_add_u32_e32 v25, 0xc00, v43
	ds_read2_b32 v[31:32], v43 offset1:88
	ds_read2_b32 v[33:34], v29 offset0:96 offset1:184
	ds_read2_b32 v[41:42], v25 offset0:112 offset1:200
	ds_read_b32 v61, v43 offset:4224
	s_waitcnt lgkmcnt(6)
	v_lshrrev_b32_e32 v57, 16, v35
	s_waitcnt lgkmcnt(3)
	v_lshrrev_b32_e32 v52, 16, v31
	v_lshrrev_b32_e32 v54, 16, v32
	;; [unrolled: 1-line block ×3, first 2 shown]
	s_waitcnt lgkmcnt(2)
	v_lshrrev_b32_e32 v53, 16, v33
	v_lshrrev_b32_e32 v55, 16, v34
	;; [unrolled: 1-line block ×6, first 2 shown]
	s_waitcnt lgkmcnt(1)
	v_lshrrev_b32_e32 v63, 16, v41
	v_lshrrev_b32_e32 v64, 16, v42
	s_waitcnt lgkmcnt(0)
	v_lshrrev_b32_e32 v29, 16, v61
.LBB0_15:
	s_or_b64 exec, exec, s[4:5]
	v_sub_f16_e32 v107, v54, v29
	v_add_f16_e32 v71, v61, v32
	v_add_f16_e32 v76, v29, v54
	s_movk_i32 s14, 0x3b15
	v_mul_f16_e32 v65, 0xb770, v107
	v_sub_f16_e32 v108, v57, v64
	v_sub_f16_e32 v97, v32, v61
	s_mov_b32 s4, 0xb770
	v_mul_f16_e32 v66, 0x3b15, v76
	v_fma_f16 v25, v71, s14, -v65
	s_movk_i32 s15, 0x388b
	v_add_f16_e32 v77, v42, v35
	v_add_f16_e32 v82, v64, v57
	v_mul_f16_e32 v67, 0xba95, v108
	v_add_f16_e32 v25, v31, v25
	v_fma_f16 v30, v97, s4, v66
	s_mov_b32 s4, 0xba95
	v_mul_f16_e32 v69, 0xba95, v107
	v_sub_f16_e32 v99, v35, v42
	v_mul_f16_e32 v68, 0x388b, v82
	v_fma_f16 v70, v77, s15, -v67
	v_add_f16_e32 v30, v52, v30
	v_mul_f16_e32 v72, 0x388b, v76
	v_fma_f16 v50, v71, s15, -v69
	v_add_f16_e32 v25, v70, v25
	v_fma_f16 v70, v99, s4, v68
	s_mov_b32 s16, 0xb5ac
	v_mul_f16_e32 v74, 0xbb7b, v108
	v_add_f16_e32 v50, v31, v50
	v_fma_f16 v51, v97, s4, v72
	v_add_f16_e32 v30, v70, v30
	s_mov_b32 s4, 0xbb7b
	v_mul_f16_e32 v78, 0xb5ac, v82
	v_fma_f16 v70, v77, s16, -v74
	v_add_f16_e32 v51, v52, v51
	v_add_f16_e32 v50, v70, v50
	v_fma_f16 v70, v99, s4, v78
	v_sub_f16_e32 v109, v58, v63
	v_add_f16_e32 v51, v70, v51
	v_add_f16_e32 v83, v41, v36
	;; [unrolled: 1-line block ×3, first 2 shown]
	s_movk_i32 s17, 0x2fb7
	v_mul_f16_e32 v70, 0xbbf1, v109
	v_sub_f16_e32 v102, v36, v41
	s_mov_b32 s5, 0xbbf1
	v_mul_f16_e32 v73, 0x2fb7, v88
	v_fma_f16 v75, v83, s17, -v70
	v_add_f16_e32 v25, v75, v25
	v_fma_f16 v75, v102, s5, v73
	s_mov_b32 s18, 0xbbc4
	v_mul_f16_e32 v80, 0xb3a8, v109
	v_add_f16_e32 v30, v75, v30
	s_mov_b32 s5, 0xb3a8
	v_mul_f16_e32 v84, 0xbbc4, v88
	v_fma_f16 v75, v83, s18, -v80
	v_add_f16_e32 v50, v75, v50
	v_fma_f16 v75, v102, s5, v84
	v_sub_f16_e32 v110, v53, v62
	v_add_f16_e32 v51, v75, v51
	v_add_f16_e32 v89, v40, v33
	;; [unrolled: 1-line block ×3, first 2 shown]
	v_mul_f16_e32 v75, 0xbb7b, v110
	v_sub_f16_e32 v103, v33, v40
	v_mul_f16_e32 v79, 0xb5ac, v93
	v_fma_f16 v81, v89, s16, -v75
	v_add_f16_e32 v25, v81, v25
	v_fma_f16 v81, v103, s4, v79
	v_mul_f16_e32 v86, 0x394e, v110
	v_add_f16_e32 v30, v81, v30
	s_movk_i32 s4, 0x394e
	v_mul_f16_e32 v90, 0xb9fd, v93
	v_fma_f16 v81, v89, s19, -v86
	v_add_f16_e32 v50, v81, v50
	v_fma_f16 v81, v103, s4, v90
	v_sub_f16_e32 v111, v55, v60
	v_add_f16_e32 v51, v81, v51
	v_add_f16_e32 v94, v39, v34
	;; [unrolled: 1-line block ×3, first 2 shown]
	v_mul_f16_e32 v81, 0xb94e, v111
	v_sub_f16_e32 v105, v34, v39
	s_mov_b32 s4, 0xb94e
	v_mul_f16_e32 v85, 0xb9fd, v98
	v_fma_f16 v87, v94, s19, -v81
	v_add_f16_e32 v25, v87, v25
	v_fma_f16 v87, v105, s4, v85
	v_mul_f16_e32 v92, 0x3bf1, v111
	v_add_f16_e32 v30, v87, v30
	s_movk_i32 s4, 0x3bf1
	v_mul_f16_e32 v95, 0x2fb7, v98
	v_fma_f16 v87, v94, s17, -v92
	v_sub_f16_e32 v112, v56, v59
	v_add_f16_e32 v113, v87, v50
	v_fma_f16 v50, v105, s4, v95
	v_add_f16_e32 v100, v38, v37
	v_add_f16_e32 v104, v59, v56
	v_mul_f16_e32 v87, 0xb3a8, v112
	v_add_f16_e32 v51, v50, v51
	v_sub_f16_e32 v106, v37, v38
	v_mul_f16_e32 v91, 0xbbc4, v104
	v_fma_f16 v50, v100, s18, -v87
	v_add_f16_e32 v25, v50, v25
	v_fma_f16 v50, v106, s5, v91
	v_mul_f16_e32 v96, 0x3770, v112
	v_add_f16_e32 v50, v50, v30
	s_movk_i32 s4, 0x3770
	v_mul_f16_e32 v101, 0x3b15, v104
	v_fma_f16 v30, v100, s14, -v96
	v_add_f16_e32 v30, v30, v113
	v_fma_f16 v113, v106, s4, v101
	v_add_f16_e32 v51, v113, v51
	s_barrier
	s_and_saveexec_b64 s[4:5], s[0:1]
	s_cbranch_execz .LBB0_17
; %bb.16:
	v_mul_f16_e32 v113, 0xbbf1, v97
	v_fma_f16 v114, v76, s17, v113
	v_mul_f16_e32 v115, 0xb3a8, v99
	v_add_f16_e32 v114, v52, v114
	v_fma_f16 v116, v82, s18, v115
	v_add_f16_e32 v114, v116, v114
	v_mul_f16_e32 v116, 0x3b7b, v102
	v_fma_f16 v117, v88, s16, v116
	v_add_f16_e32 v114, v117, v114
	v_mul_f16_e32 v117, 0x3770, v103
	v_fma_f16 v118, v93, s14, v117
	v_add_f16_e32 v114, v118, v114
	v_mul_f16_e32 v118, 0xba95, v105
	v_fma_f16 v119, v98, s15, v118
	v_add_f16_e32 v114, v119, v114
	v_mul_f16_e32 v119, 0xb94e, v106
	v_fma_f16 v120, v104, s19, v119
	v_add_f16_e32 v114, v120, v114
	v_mul_f16_e32 v120, 0xbbf1, v107
	v_fma_f16 v121, v71, s17, -v120
	v_mul_f16_e32 v122, 0xb3a8, v108
	v_add_f16_e32 v121, v31, v121
	v_fma_f16 v123, v77, s18, -v122
	v_add_f16_e32 v121, v123, v121
	v_mul_f16_e32 v123, 0x3b7b, v109
	v_fma_f16 v124, v83, s16, -v123
	v_add_f16_e32 v121, v124, v121
	v_mul_f16_e32 v124, 0x3770, v110
	v_fma_f16 v125, v89, s14, -v124
	v_add_f16_e32 v121, v125, v121
	v_mul_f16_e32 v125, 0xba95, v111
	v_fma_f16 v126, v94, s15, -v125
	v_add_f16_e32 v121, v126, v121
	v_mul_f16_e32 v126, 0xb94e, v112
	v_fma_f16 v127, v100, s19, -v126
	v_add_f16_e32 v121, v127, v121
	v_mul_f16_e32 v127, 0xbb7b, v97
	v_fma_f16 v128, v76, s16, v127
	v_mul_f16_e32 v129, 0x394e, v99
	v_add_f16_e32 v128, v52, v128
	v_fma_f16 v130, v82, s19, v129
	v_add_f16_e32 v128, v130, v128
	v_mul_f16_e32 v130, 0x3770, v102
	v_fma_f16 v131, v88, s14, v130
	v_add_f16_e32 v128, v131, v128
	v_mul_f16_e32 v131, 0xbbf1, v103
	v_fma_f16 v132, v93, s17, v131
	v_add_f16_e32 v128, v132, v128
	v_mul_f16_e32 v132, 0x33a8, v105
	v_fma_f16 v133, v98, s18, v132
	v_add_f16_e32 v128, v133, v128
	v_mul_f16_e32 v133, 0x3a95, v106
	v_fma_f16 v134, v104, s15, v133
	v_add_f16_e32 v128, v134, v128
	v_mul_f16_e32 v134, 0xbb7b, v107
	v_fma_f16 v135, v71, s16, -v134
	v_mul_f16_e32 v136, 0x394e, v108
	v_add_f16_e32 v135, v31, v135
	v_fma_f16 v137, v77, s19, -v136
	v_add_f16_e32 v135, v137, v135
	v_mul_f16_e32 v137, 0x3770, v109
	v_fma_f16 v138, v83, s14, -v137
	v_add_f16_e32 v135, v138, v135
	v_mul_f16_e32 v138, 0xbbf1, v110
	v_fma_f16 v139, v89, s17, -v138
	v_add_f16_e32 v135, v139, v135
	v_mul_f16_e32 v139, 0x33a8, v111
	v_fma_f16 v140, v94, s18, -v139
	v_add_f16_e32 v135, v140, v135
	v_mul_f16_e32 v140, 0x3a95, v112
	v_fma_f16 v141, v100, s15, -v140
	v_add_f16_e32 v135, v141, v135
	;; [unrolled: 36-line block ×3, first 2 shown]
	v_mul_f16_e32 v155, 0xb3a8, v97
	v_fma_f16 v156, v76, s18, v155
	v_mul_f16_e32 v157, 0x3770, v99
	v_add_f16_e32 v156, v52, v156
	v_fma_f16 v158, v82, s14, v157
	v_add_f16_e32 v156, v158, v156
	v_mul_f16_e32 v158, 0xb94e, v102
	v_fma_f16 v159, v88, s19, v158
	v_add_f16_e32 v156, v159, v156
	v_mul_f16_e32 v159, 0x3a95, v103
	;; [unrolled: 3-line block ×4, first 2 shown]
	v_fma_f16 v162, v104, s17, v161
	v_mul_f16_e32 v107, 0xb3a8, v107
	v_add_f16_e32 v156, v162, v156
	v_fma_f16 v162, v71, s18, -v107
	v_mul_f16_e32 v108, 0x3770, v108
	v_fma_f16 v107, v71, s18, v107
	v_fma_f16 v163, v77, s14, -v108
	v_mul_f16_e32 v109, 0xb94e, v109
	v_add_f16_e32 v107, v31, v107
	v_fma_f16 v108, v77, s14, v108
	v_mul_f16_e32 v110, 0x3a95, v110
	v_add_f16_e32 v107, v108, v107
	v_fma_f16 v108, v83, s19, v109
	;; [unrolled: 3-line block ×4, first 2 shown]
	v_add_f16_e32 v107, v108, v107
	v_fma_f16 v108, v100, s17, v112
	v_add_f16_e32 v162, v31, v162
	v_add_f16_e32 v107, v108, v107
	v_fma_f16 v108, v76, s19, -v141
	v_add_f16_e32 v162, v163, v162
	v_fma_f16 v163, v83, s19, -v109
	;; [unrolled: 2-line block ×6, first 2 shown]
	v_fma_f16 v110, v71, s19, v148
	v_add_f16_e32 v162, v163, v162
	v_fma_f16 v163, v94, s16, -v111
	v_add_f16_e32 v108, v109, v108
	v_fma_f16 v109, v98, s14, -v146
	v_add_f16_e32 v110, v31, v110
	v_fma_f16 v111, v77, s17, v150
	v_add_f16_e32 v162, v163, v162
	v_fma_f16 v163, v100, s17, -v112
	v_add_f16_e32 v108, v109, v108
	v_fma_f16 v109, v104, s16, -v147
	v_add_f16_e32 v110, v111, v110
	v_fma_f16 v112, v83, s15, v151
	v_add_f16_e32 v108, v109, v108
	v_mul_f16_e32 v109, 0x3b15, v71
	v_add_f16_e32 v110, v112, v110
	v_mul_f16_e32 v112, 0x388b, v71
	v_fma_f16 v141, v89, s18, v152
	v_fma_f16 v134, v71, s16, v134
	;; [unrolled: 1-line block ×3, first 2 shown]
	v_add_f16_e32 v69, v112, v69
	v_add_f16_e32 v65, v109, v65
	v_add_f16_e32 v110, v141, v110
	v_fma_f16 v143, v94, s14, v153
	v_add_f16_e32 v134, v31, v134
	v_add_f16_e32 v71, v31, v71
	;; [unrolled: 1-line block ×7, first 2 shown]
	v_fma_f16 v144, v100, s16, v154
	v_fma_f16 v127, v76, s16, -v127
	v_add_f16_e32 v31, v35, v31
	v_add_f16_e32 v32, v57, v32
	v_mul_f16_e32 v141, 0x388b, v77
	v_add_f16_e32 v110, v144, v110
	v_mul_f16_e32 v144, 0xb5ac, v77
	v_add_f16_e32 v127, v52, v127
	v_fma_f16 v129, v82, s19, -v129
	v_fma_f16 v136, v77, s19, v136
	v_fma_f16 v77, v77, s18, v122
	v_add_f16_e32 v31, v36, v31
	v_add_f16_e32 v32, v58, v32
	;; [unrolled: 1-line block ×3, first 2 shown]
	v_fma_f16 v130, v88, s14, -v130
	v_add_f16_e32 v71, v77, v71
	v_fma_f16 v77, v83, s16, v123
	v_add_f16_e32 v31, v33, v31
	v_add_f16_e32 v32, v53, v32
	v_mul_f16_e32 v111, 0xb770, v97
	v_add_f16_e32 v127, v130, v127
	v_fma_f16 v131, v93, s17, -v131
	v_add_f16_e32 v71, v77, v71
	v_fma_f16 v77, v89, s14, v124
	v_add_f16_e32 v31, v34, v31
	v_add_f16_e32 v32, v55, v32
	v_mul_f16_e32 v97, 0xba95, v97
	v_mul_f16_e32 v143, 0xba95, v99
	v_add_f16_e32 v127, v131, v127
	v_fma_f16 v132, v98, s18, -v132
	v_add_f16_e32 v134, v136, v134
	v_fma_f16 v137, v83, s14, v137
	v_add_f16_e32 v71, v77, v71
	v_fma_f16 v77, v94, s15, v125
	v_sub_f16_e32 v66, v66, v111
	v_add_f16_e32 v31, v37, v31
	v_add_f16_e32 v32, v56, v32
	v_fma_f16 v155, v76, s18, -v155
	v_mul_f16_e32 v99, 0xbb7b, v99
	v_mul_f16_e32 v129, 0x2fb7, v83
	;; [unrolled: 1-line block ×3, first 2 shown]
	v_add_f16_e32 v127, v132, v127
	v_fma_f16 v133, v104, s15, -v133
	v_add_f16_e32 v134, v137, v134
	v_fma_f16 v138, v89, s17, v138
	v_fma_f16 v76, v76, s17, -v113
	v_add_f16_e32 v71, v77, v71
	v_fma_f16 v77, v100, s19, v126
	v_sub_f16_e32 v72, v72, v97
	v_add_f16_e32 v66, v52, v66
	v_sub_f16_e32 v68, v68, v143
	v_add_f16_e32 v67, v141, v67
	v_add_f16_e32 v31, v38, v31
	;; [unrolled: 1-line block ×3, first 2 shown]
	v_fma_f16 v157, v82, s14, -v157
	v_mul_f16_e32 v131, 0xbbc4, v83
	v_mul_f16_e32 v102, 0xb3a8, v102
	;; [unrolled: 1-line block ×3, first 2 shown]
	v_add_f16_e32 v127, v133, v127
	v_mul_f16_e32 v133, 0xbb7b, v103
	v_add_f16_e32 v134, v138, v134
	v_fma_f16 v139, v94, s18, v139
	v_fma_f16 v82, v82, s18, -v115
	v_add_f16_e32 v76, v52, v76
	v_add_f16_e32 v71, v77, v71
	;; [unrolled: 1-line block ×3, first 2 shown]
	v_sub_f16_e32 v77, v78, v99
	v_add_f16_e32 v74, v144, v74
	v_add_f16_e32 v66, v68, v66
	v_sub_f16_e32 v68, v73, v130
	v_add_f16_e32 v65, v67, v65
	v_add_f16_e32 v67, v129, v70
	;; [unrolled: 1-line block ×4, first 2 shown]
	v_mul_f16_e32 v136, 0xb9fd, v89
	v_mul_f16_e32 v103, 0x394e, v103
	;; [unrolled: 1-line block ×4, first 2 shown]
	v_add_f16_e32 v134, v139, v134
	v_fma_f16 v140, v100, s15, v140
	v_add_f16_e32 v76, v82, v76
	v_fma_f16 v82, v88, s16, -v116
	v_add_f16_e32 v72, v77, v72
	v_sub_f16_e32 v77, v84, v102
	v_add_f16_e32 v69, v74, v69
	v_add_f16_e32 v74, v131, v80
	;; [unrolled: 1-line block ×3, first 2 shown]
	v_sub_f16_e32 v68, v79, v133
	v_add_f16_e32 v65, v67, v65
	v_add_f16_e32 v67, v132, v75
	v_add_f16_e32 v31, v40, v31
	v_add_f16_e32 v32, v62, v32
	v_add_f16_e32 v155, v52, v155
	v_mul_f16_e32 v139, 0x2fb7, v94
	v_mul_f16_e32 v105, 0x3bf1, v105
	v_add_f16_e32 v134, v140, v134
	v_mul_f16_e32 v140, 0xbbc4, v100
	v_mul_f16_e32 v113, 0xb3a8, v106
	v_add_f16_e32 v76, v82, v76
	v_fma_f16 v82, v93, s14, -v117
	v_add_f16_e32 v72, v77, v72
	v_sub_f16_e32 v77, v90, v103
	v_add_f16_e32 v69, v74, v69
	v_add_f16_e32 v74, v136, v86
	;; [unrolled: 1-line block ×3, first 2 shown]
	v_sub_f16_e32 v68, v85, v138
	v_add_f16_e32 v65, v67, v65
	v_add_f16_e32 v67, v137, v81
	;; [unrolled: 1-line block ×5, first 2 shown]
	v_fma_f16 v157, v88, s19, -v158
	v_mul_f16_e32 v115, 0x3b15, v100
	v_mul_f16_e32 v106, 0x3770, v106
	v_add_f16_e32 v76, v82, v76
	v_fma_f16 v82, v98, s15, -v118
	v_add_f16_e32 v72, v77, v72
	v_sub_f16_e32 v77, v95, v105
	v_add_f16_e32 v69, v74, v69
	v_add_f16_e32 v74, v139, v92
	v_add_f16_e32 v66, v68, v66
	v_sub_f16_e32 v68, v91, v113
	v_add_f16_e32 v65, v67, v65
	v_add_f16_e32 v67, v140, v87
	;; [unrolled: 1-line block ×5, first 2 shown]
	v_fma_f16 v157, v93, s15, -v159
	v_add_f16_e32 v76, v82, v76
	v_fma_f16 v82, v104, s19, -v119
	v_add_f16_e32 v72, v77, v72
	v_sub_f16_e32 v77, v101, v106
	v_add_f16_e32 v69, v74, v69
	v_add_f16_e32 v74, v115, v96
	;; [unrolled: 1-line block ×7, first 2 shown]
	v_fma_f16 v157, v98, s16, -v160
	v_add_f16_e32 v76, v82, v76
	v_add_f16_e32 v72, v77, v72
	v_add_f16_e32 v69, v74, v69
	v_lshlrev_b32_e32 v32, 2, v45
	v_pack_b32_f16 v33, v65, v66
	v_pack_b32_f16 v29, v31, v29
	v_add_f16_e32 v155, v157, v155
	v_fma_f16 v157, v104, s17, -v161
	ds_write2_b32 v32, v29, v33 offset1:1
	v_pack_b32_f16 v29, v69, v72
	v_pack_b32_f16 v31, v71, v76
	v_add_f16_e32 v162, v163, v162
	v_add_f16_e32 v155, v157, v155
	ds_write2_b32 v32, v29, v31 offset0:2 offset1:3
	v_pack_b32_f16 v29, v110, v108
	v_pack_b32_f16 v31, v134, v127
	ds_write2_b32 v32, v31, v29 offset0:4 offset1:5
	v_pack_b32_f16 v29, v162, v156
	v_pack_b32_f16 v31, v107, v155
	;; [unrolled: 3-line block ×3, first 2 shown]
	s_mov_b32 s14, 0x5040100
	ds_write2_b32 v32, v31, v29 offset0:8 offset1:9
	v_pack_b32_f16 v29, v121, v114
	v_perm_b32 v31, v51, v30, s14
	ds_write2_b32 v32, v29, v31 offset0:10 offset1:11
	v_perm_b32 v29, v50, v25, s14
	ds_write_b32 v32, v29 offset:48
.LBB0_17:
	s_or_b64 exec, exec, s[4:5]
	s_waitcnt lgkmcnt(0)
	s_barrier
	ds_read2_b32 v[34:35], v43 offset1:104
	v_add_u32_e32 v29, 0x200, v43
	ds_read2_b32 v[36:37], v29 offset0:80 offset1:184
	v_add_u32_e32 v33, 0x600, v43
	ds_read2_b32 v[38:39], v33 offset0:32 offset1:136
	s_waitcnt lgkmcnt(2)
	v_lshrrev_b32_e32 v29, 16, v35
	v_add_u32_e32 v31, 0x800, v43
	ds_read2_b32 v[40:41], v31 offset0:112 offset1:216
	v_mul_f16_sdwa v62, v4, v29 dst_sel:DWORD dst_unused:UNUSED_PAD src0_sel:WORD_1 src1_sel:DWORD
	s_waitcnt lgkmcnt(2)
	v_lshrrev_b32_e32 v42, 16, v36
	v_add_u32_e32 v32, 0xc00, v43
	v_fma_f16 v62, v4, v35, v62
	v_mul_f16_sdwa v35, v4, v35 dst_sel:DWORD dst_unused:UNUSED_PAD src0_sel:WORD_1 src1_sel:DWORD
	v_lshrrev_b32_e32 v45, 16, v37
	ds_read2_b32 v[52:53], v32 offset0:64 offset1:168
	v_fma_f16 v4, v4, v29, -v35
	v_mul_f16_sdwa v29, v5, v42 dst_sel:DWORD dst_unused:UNUSED_PAD src0_sel:WORD_1 src1_sel:DWORD
	v_mul_f16_sdwa v35, v5, v36 dst_sel:DWORD dst_unused:UNUSED_PAD src0_sel:WORD_1 src1_sel:DWORD
	s_waitcnt lgkmcnt(2)
	v_lshrrev_b32_e32 v54, 16, v38
	v_fma_f16 v29, v5, v36, v29
	v_fma_f16 v5, v5, v42, -v35
	v_mul_f16_sdwa v35, v6, v45 dst_sel:DWORD dst_unused:UNUSED_PAD src0_sel:WORD_1 src1_sel:DWORD
	v_mul_f16_sdwa v36, v6, v37 dst_sel:DWORD dst_unused:UNUSED_PAD src0_sel:WORD_1 src1_sel:DWORD
	v_lshrrev_b32_e32 v55, 16, v39
	ds_read_b32 v56, v43 offset:4160
	v_fma_f16 v35, v6, v37, v35
	v_fma_f16 v6, v6, v45, -v36
	v_mul_f16_sdwa v36, v7, v54 dst_sel:DWORD dst_unused:UNUSED_PAD src0_sel:WORD_1 src1_sel:DWORD
	v_mul_f16_sdwa v37, v7, v38 dst_sel:DWORD dst_unused:UNUSED_PAD src0_sel:WORD_1 src1_sel:DWORD
	s_waitcnt lgkmcnt(2)
	v_lshrrev_b32_e32 v57, 16, v40
	v_fma_f16 v36, v7, v38, v36
	v_fma_f16 v7, v7, v54, -v37
	v_mul_f16_sdwa v37, v8, v55 dst_sel:DWORD dst_unused:UNUSED_PAD src0_sel:WORD_1 src1_sel:DWORD
	v_mul_f16_sdwa v38, v8, v39 dst_sel:DWORD dst_unused:UNUSED_PAD src0_sel:WORD_1 src1_sel:DWORD
	v_lshrrev_b32_e32 v58, 16, v41
	v_fma_f16 v37, v8, v39, v37
	v_fma_f16 v8, v8, v55, -v38
	v_mul_f16_sdwa v38, v9, v57 dst_sel:DWORD dst_unused:UNUSED_PAD src0_sel:WORD_1 src1_sel:DWORD
	v_mul_f16_sdwa v39, v9, v40 dst_sel:DWORD dst_unused:UNUSED_PAD src0_sel:WORD_1 src1_sel:DWORD
	s_waitcnt lgkmcnt(1)
	v_lshrrev_b32_e32 v59, 16, v52
	v_fma_f16 v38, v9, v40, v38
	v_fma_f16 v9, v9, v57, -v39
	v_mul_f16_sdwa v39, v10, v58 dst_sel:DWORD dst_unused:UNUSED_PAD src0_sel:WORD_1 src1_sel:DWORD
	v_mul_f16_sdwa v40, v10, v41 dst_sel:DWORD dst_unused:UNUSED_PAD src0_sel:WORD_1 src1_sel:DWORD
	v_lshrrev_b32_e32 v60, 16, v53
	v_fma_f16 v39, v10, v41, v39
	v_fma_f16 v10, v10, v58, -v40
	v_mul_f16_sdwa v40, v11, v59 dst_sel:DWORD dst_unused:UNUSED_PAD src0_sel:WORD_1 src1_sel:DWORD
	v_mul_f16_sdwa v41, v11, v52 dst_sel:DWORD dst_unused:UNUSED_PAD src0_sel:WORD_1 src1_sel:DWORD
	s_waitcnt lgkmcnt(0)
	v_lshrrev_b32_e32 v61, 16, v56
	v_fma_f16 v40, v11, v52, v40
	v_fma_f16 v11, v11, v59, -v41
	v_mul_f16_sdwa v41, v23, v60 dst_sel:DWORD dst_unused:UNUSED_PAD src0_sel:WORD_1 src1_sel:DWORD
	v_mul_f16_sdwa v42, v23, v53 dst_sel:DWORD dst_unused:UNUSED_PAD src0_sel:WORD_1 src1_sel:DWORD
	v_fma_f16 v41, v23, v53, v41
	v_fma_f16 v23, v23, v60, -v42
	v_mul_f16_sdwa v42, v24, v61 dst_sel:DWORD dst_unused:UNUSED_PAD src0_sel:WORD_1 src1_sel:DWORD
	v_mul_f16_sdwa v45, v24, v56 dst_sel:DWORD dst_unused:UNUSED_PAD src0_sel:WORD_1 src1_sel:DWORD
	v_fma_f16 v42, v24, v56, v42
	v_fma_f16 v24, v24, v61, -v45
	v_add_f16_e32 v45, v34, v62
	v_add_f16_sdwa v52, v34, v4 dst_sel:DWORD dst_unused:UNUSED_PAD src0_sel:WORD_1 src1_sel:DWORD
	v_add_f16_e32 v45, v45, v29
	v_add_f16_e32 v52, v52, v5
	v_add_f16_e32 v45, v45, v35
	v_add_f16_e32 v52, v52, v6
	v_add_f16_e32 v45, v45, v36
	v_add_f16_e32 v52, v52, v7
	v_add_f16_e32 v45, v45, v37
	v_add_f16_e32 v52, v52, v8
	v_add_f16_e32 v45, v45, v38
	v_add_f16_e32 v52, v52, v9
	v_add_f16_e32 v45, v45, v39
	v_add_f16_e32 v52, v52, v10
	v_add_f16_e32 v45, v45, v40
	v_add_f16_e32 v52, v52, v11
	v_add_f16_e32 v45, v45, v41
	v_add_f16_e32 v52, v52, v23
	v_add_f16_e32 v54, v4, v24
	v_sub_f16_e32 v4, v4, v24
	v_add_f16_e32 v45, v45, v42
	v_add_f16_e32 v52, v52, v24
	;; [unrolled: 1-line block ×3, first 2 shown]
	v_sub_f16_e32 v42, v62, v42
	s_mov_b32 s17, 0xb853
	v_mul_f16_e32 v24, 0xb853, v4
	s_movk_i32 s18, 0x3abb
	v_mul_f16_e32 v56, 0x3abb, v54
	s_movk_i32 s19, 0x3853
	s_mov_b32 s5, 0xbb47
	v_mul_f16_e32 v58, 0xbb47, v4
	s_movk_i32 s14, 0x36a6
	v_mul_f16_e32 v60, 0x36a6, v54
	s_movk_i32 s15, 0x3b47
	s_mov_b32 s4, 0xbbeb
	v_mul_f16_e32 v62, 0xbbeb, v4
	s_mov_b32 s16, 0xb08e
	v_mul_f16_e32 v64, 0xb08e, v54
	s_movk_i32 s20, 0x3beb
	s_mov_b32 s21, 0xba0c
	v_mul_f16_e32 v66, 0xba0c, v4
	s_mov_b32 s22, 0xb93d
	;; [unrolled: 5-line block ×3, first 2 shown]
	v_mul_f16_e32 v54, 0xbbad, v54
	s_movk_i32 s26, 0x3482
	v_fma_f16 v55, v53, s18, v24
	v_fma_f16 v57, v42, s19, v56
	v_fma_f16 v24, v53, s18, -v24
	v_fma_f16 v56, v42, s17, v56
	v_fma_f16 v59, v53, s14, v58
	v_fma_f16 v61, v42, s15, v60
	v_fma_f16 v58, v53, s14, -v58
	v_fma_f16 v60, v42, s5, v60
	v_fma_f16 v63, v53, s16, v62
	v_fma_f16 v65, v42, s20, v64
	v_fma_f16 v62, v53, s16, -v62
	v_fma_f16 v64, v42, s4, v64
	v_fma_f16 v67, v53, s22, v66
	v_fma_f16 v69, v42, s23, v68
	v_fma_f16 v66, v53, s22, -v66
	v_fma_f16 v68, v42, s21, v68
	v_fma_f16 v70, v53, s25, v4
	v_fma_f16 v71, v42, s26, v54
	v_fma_f16 v4, v53, s25, -v4
	v_fma_f16 v42, v42, s24, v54
	v_add_f16_e32 v53, v5, v23
	v_sub_f16_e32 v5, v5, v23
	v_add_f16_e32 v55, v34, v55
	v_add_f16_sdwa v57, v34, v57 dst_sel:DWORD dst_unused:UNUSED_PAD src0_sel:WORD_1 src1_sel:DWORD
	v_add_f16_e32 v24, v34, v24
	v_add_f16_sdwa v56, v34, v56 dst_sel:DWORD dst_unused:UNUSED_PAD src0_sel:WORD_1 src1_sel:DWORD
	;; [unrolled: 2-line block ×10, first 2 shown]
	v_add_f16_e32 v42, v29, v41
	v_mul_f16_e32 v23, 0xbb47, v5
	v_sub_f16_e32 v29, v29, v41
	v_fma_f16 v41, v42, s14, v23
	v_mul_f16_e32 v54, 0x36a6, v53
	v_fma_f16 v23, v42, s14, -v23
	v_add_f16_e32 v41, v41, v55
	v_fma_f16 v55, v29, s15, v54
	v_add_f16_e32 v23, v23, v24
	v_fma_f16 v24, v29, s5, v54
	v_mul_f16_e32 v54, 0xba0c, v5
	v_add_f16_e32 v55, v55, v57
	v_add_f16_e32 v24, v24, v56
	v_fma_f16 v56, v42, s22, v54
	v_mul_f16_e32 v57, 0xb93d, v53
	v_fma_f16 v54, v42, s22, -v54
	v_add_f16_e32 v56, v56, v59
	v_fma_f16 v59, v29, s23, v57
	v_add_f16_e32 v54, v54, v58
	v_fma_f16 v57, v29, s21, v57
	v_mul_f16_e32 v58, 0x3482, v5
	v_add_f16_e32 v59, v59, v61
	v_add_f16_e32 v57, v57, v60
	v_fma_f16 v60, v42, s25, v58
	v_mul_f16_e32 v61, 0xbbad, v53
	v_fma_f16 v58, v42, s25, -v58
	v_add_f16_e32 v60, v60, v63
	v_fma_f16 v63, v29, s24, v61
	v_add_f16_e32 v58, v58, v62
	v_fma_f16 v61, v29, s26, v61
	v_mul_f16_e32 v62, 0x3beb, v5
	v_add_f16_e32 v61, v61, v64
	v_fma_f16 v64, v42, s16, v62
	v_fma_f16 v62, v42, s16, -v62
	v_mul_f16_e32 v5, 0x3853, v5
	v_add_f16_e32 v63, v63, v65
	v_mul_f16_e32 v65, 0xb08e, v53
	v_add_f16_e32 v62, v62, v66
	v_fma_f16 v66, v42, s18, v5
	v_mul_f16_e32 v53, 0x3abb, v53
	v_fma_f16 v5, v42, s18, -v5
	v_add_f16_e32 v4, v5, v4
	v_fma_f16 v5, v29, s19, v53
	v_add_f16_e32 v64, v64, v67
	v_fma_f16 v67, v29, s4, v65
	v_fma_f16 v65, v29, s20, v65
	v_add_f16_e32 v5, v5, v34
	v_add_f16_e32 v34, v6, v11
	v_sub_f16_e32 v6, v6, v11
	v_add_f16_e32 v65, v65, v68
	v_fma_f16 v68, v29, s17, v53
	v_add_f16_e32 v29, v35, v40
	v_mul_f16_e32 v11, 0xbbeb, v6
	v_sub_f16_e32 v35, v35, v40
	v_fma_f16 v40, v29, s16, v11
	v_add_f16_e32 v40, v40, v41
	v_mul_f16_e32 v41, 0xb08e, v34
	v_fma_f16 v11, v29, s16, -v11
	v_add_f16_e32 v11, v11, v23
	v_fma_f16 v23, v35, s4, v41
	v_add_f16_e32 v23, v23, v24
	v_mul_f16_e32 v24, 0x3482, v6
	v_fma_f16 v42, v35, s20, v41
	v_fma_f16 v41, v29, s25, v24
	v_fma_f16 v24, v29, s25, -v24
	v_mul_f16_e32 v53, 0xbbad, v34
	v_add_f16_e32 v24, v24, v54
	v_mul_f16_e32 v54, 0x3b47, v6
	v_add_f16_e32 v42, v42, v55
	v_add_f16_e32 v41, v41, v56
	v_fma_f16 v55, v35, s24, v53
	v_fma_f16 v53, v35, s26, v53
	;; [unrolled: 1-line block ×3, first 2 shown]
	v_fma_f16 v54, v29, s14, -v54
	v_add_f16_e32 v53, v53, v57
	v_mul_f16_e32 v57, 0x36a6, v34
	v_add_f16_e32 v54, v54, v58
	v_mul_f16_e32 v58, 0xb853, v6
	v_add_f16_e32 v55, v55, v59
	v_add_f16_e32 v56, v56, v60
	v_fma_f16 v59, v35, s5, v57
	v_fma_f16 v57, v35, s15, v57
	;; [unrolled: 1-line block ×3, first 2 shown]
	v_fma_f16 v58, v29, s18, -v58
	v_mul_f16_e32 v6, 0xba0c, v6
	v_add_f16_e32 v57, v57, v61
	v_mul_f16_e32 v61, 0x3abb, v34
	v_add_f16_e32 v58, v58, v62
	v_fma_f16 v62, v29, s22, v6
	v_mul_f16_e32 v34, 0xb93d, v34
	v_fma_f16 v6, v29, s22, -v6
	v_add_f16_e32 v4, v6, v4
	v_fma_f16 v6, v35, s21, v34
	v_add_f16_e32 v29, v7, v10
	v_sub_f16_e32 v7, v7, v10
	v_add_f16_e32 v5, v6, v5
	v_add_f16_e32 v6, v36, v39
	v_mul_f16_e32 v10, 0xba0c, v7
	v_add_f16_e32 v59, v59, v63
	v_add_f16_e32 v60, v60, v64
	v_fma_f16 v63, v35, s19, v61
	v_fma_f16 v61, v35, s17, v61
	;; [unrolled: 1-line block ×3, first 2 shown]
	v_sub_f16_e32 v34, v36, v39
	v_fma_f16 v35, v6, s22, v10
	v_mul_f16_e32 v36, 0xb93d, v29
	v_fma_f16 v10, v6, s22, -v10
	v_add_f16_e32 v10, v10, v11
	v_fma_f16 v11, v34, s21, v36
	v_add_f16_e32 v11, v11, v23
	v_mul_f16_e32 v23, 0x3beb, v7
	v_add_f16_e32 v35, v35, v40
	v_fma_f16 v39, v34, s23, v36
	v_fma_f16 v36, v6, s16, v23
	v_mul_f16_e32 v40, 0xb08e, v29
	v_fma_f16 v23, v6, s16, -v23
	v_add_f16_e32 v36, v36, v41
	v_fma_f16 v41, v34, s4, v40
	v_add_f16_e32 v23, v23, v24
	v_fma_f16 v24, v34, s20, v40
	v_mul_f16_e32 v40, 0xb853, v7
	v_add_f16_e32 v39, v39, v42
	v_fma_f16 v42, v6, s18, v40
	v_fma_f16 v40, v6, s18, -v40
	v_add_f16_e32 v24, v24, v53
	v_mul_f16_e32 v53, 0x3abb, v29
	v_add_f16_e32 v40, v40, v54
	v_mul_f16_e32 v54, 0xb482, v7
	v_add_f16_e32 v66, v66, v70
	v_add_f16_e32 v41, v41, v55
	;; [unrolled: 1-line block ×3, first 2 shown]
	v_fma_f16 v55, v34, s19, v53
	v_fma_f16 v53, v34, s17, v53
	;; [unrolled: 1-line block ×3, first 2 shown]
	v_fma_f16 v54, v6, s25, -v54
	v_mul_f16_e32 v7, 0x3b47, v7
	v_add_f16_e32 v62, v62, v66
	v_add_f16_e32 v53, v53, v57
	v_mul_f16_e32 v57, 0xbbad, v29
	v_add_f16_e32 v54, v54, v58
	v_fma_f16 v58, v6, s14, v7
	v_mul_f16_e32 v29, 0x36a6, v29
	v_fma_f16 v6, v6, s14, -v7
	v_add_f16_e32 v61, v61, v65
	v_add_f16_e32 v55, v55, v59
	v_fma_f16 v59, v34, s26, v57
	v_fma_f16 v57, v34, s24, v57
	v_add_f16_e32 v58, v58, v62
	v_add_f16_e32 v6, v6, v4
	v_fma_f16 v4, v34, s15, v29
	v_add_f16_e32 v62, v8, v9
	v_sub_f16_e32 v8, v8, v9
	v_add_f16_e32 v57, v57, v61
	v_add_f16_e32 v7, v4, v5
	;; [unrolled: 1-line block ×3, first 2 shown]
	v_mul_f16_e32 v4, 0xb482, v8
	v_fma_f16 v5, v61, s25, v4
	v_sub_f16_e32 v37, v37, v38
	v_add_f16_e32 v9, v5, v35
	v_mul_f16_e32 v5, 0xbbad, v62
	v_add_f16_e32 v56, v56, v60
	v_fma_f16 v60, v34, s5, v29
	v_fma_f16 v29, v37, s26, v5
	v_fma_f16 v4, v61, s25, -v4
	v_add_f16_e32 v38, v29, v39
	v_add_f16_e32 v29, v4, v10
	v_fma_f16 v4, v37, s24, v5
	v_add_f16_e32 v35, v4, v11
	v_mul_f16_e32 v4, 0x3853, v8
	v_fma_f16 v5, v61, s18, v4
	v_mul_f16_e32 v11, 0x3abb, v62
	v_add_f16_e32 v10, v5, v36
	v_fma_f16 v5, v37, s17, v11
	v_fma_f16 v4, v61, s18, -v4
	v_add_f16_e32 v39, v5, v41
	v_add_f16_e32 v5, v4, v23
	v_fma_f16 v4, v37, s19, v11
	v_mul_f16_e32 v23, 0xb93d, v62
	v_add_f16_e32 v36, v4, v24
	v_mul_f16_e32 v4, 0xba0c, v8
	v_fma_f16 v24, v37, s23, v23
	v_fma_f16 v23, v37, s21, v23
	;; [unrolled: 1-line block ×3, first 2 shown]
	v_fma_f16 v4, v61, s22, -v4
	v_add_f16_e32 v34, v23, v53
	v_mul_f16_e32 v23, 0x3b47, v8
	v_add_f16_e32 v4, v4, v40
	v_fma_f16 v40, v61, s14, v23
	v_fma_f16 v23, v61, s14, -v23
	v_mul_f16_e32 v8, 0xbbeb, v8
	v_mul_f16_e32 v41, 0x36a6, v62
	v_add_f16_e32 v23, v23, v54
	v_fma_f16 v53, v61, s16, v8
	v_mul_f16_e32 v54, 0xb08e, v62
	v_fma_f16 v8, v61, s16, -v8
	v_add_f16_e32 v67, v67, v69
	v_add_f16_e32 v68, v68, v71
	;; [unrolled: 1-line block ×3, first 2 shown]
	v_fma_f16 v42, v37, s5, v41
	v_fma_f16 v41, v37, s15, v41
	v_add_f16_e32 v6, v8, v6
	v_fma_f16 v8, v37, s4, v54
	v_add_f16_e32 v63, v63, v67
	v_add_f16_e32 v64, v64, v68
	v_add_f16_e32 v41, v41, v57
	v_add_f16_e32 v7, v8, v7
	v_add_f16_e32 v59, v59, v63
	v_add_f16_e32 v60, v60, v64
	v_add_f16_e32 v24, v24, v55
	v_fma_f16 v55, v37, s20, v54
	v_pack_b32_f16 v8, v45, v52
	v_pack_b32_f16 v9, v9, v38
	;; [unrolled: 1-line block ×4, first 2 shown]
	v_add_f16_e32 v40, v40, v56
	v_add_f16_e32 v42, v42, v59
	;; [unrolled: 1-line block ×4, first 2 shown]
	s_barrier
	ds_write2_b32 v46, v8, v9 offset1:13
	v_pack_b32_f16 v8, v10, v39
	v_pack_b32_f16 v9, v11, v24
	ds_write2_b32 v46, v6, v7 offset0:78 offset1:91
	v_pack_b32_f16 v6, v4, v34
	v_pack_b32_f16 v7, v5, v36
	ds_write2_b32 v46, v8, v9 offset0:26 offset1:39
	;; [unrolled: 3-line block ×3, first 2 shown]
	v_pack_b32_f16 v6, v29, v35
	v_add_u32_e32 v37, 0x400, v43
	ds_write2_b32 v46, v8, v9 offset0:52 offset1:65
	ds_write_b32 v46, v6 offset:520
	s_waitcnt lgkmcnt(0)
	s_barrier
	ds_read2_b32 v[6:7], v43 offset1:143
	ds_read2_b32 v[23:24], v37 offset0:30 offset1:173
	ds_read2_b32 v[10:11], v31 offset0:60 offset1:203
	;; [unrolled: 1-line block ×3, first 2 shown]
	s_and_saveexec_b64 s[4:5], s[2:3]
	s_cbranch_execz .LBB0_19
; %bb.18:
	v_add_u32_e32 v25, 0xa00, v43
	v_add_u32_e32 v27, 0xe00, v43
	ds_read2_b32 v[4:5], v43 offset0:104 offset1:247
	ds_read2_b32 v[29:30], v33 offset0:6 offset1:149
	;; [unrolled: 1-line block ×4, first 2 shown]
	s_waitcnt lgkmcnt(3)
	v_lshrrev_b32_e32 v34, 16, v4
	v_lshrrev_b32_e32 v36, 16, v5
	s_waitcnt lgkmcnt(2)
	v_lshrrev_b32_e32 v35, 16, v29
	v_lshrrev_b32_e32 v51, 16, v30
	;; [unrolled: 3-line block ×4, first 2 shown]
.LBB0_19:
	s_or_b64 exec, exec, s[4:5]
	s_waitcnt lgkmcnt(3)
	v_lshrrev_b32_e32 v38, 16, v7
	v_mul_f16_sdwa v52, v12, v38 dst_sel:DWORD dst_unused:UNUSED_PAD src0_sel:WORD_1 src1_sel:DWORD
	s_waitcnt lgkmcnt(2)
	v_lshrrev_b32_e32 v39, 16, v23
	v_fma_f16 v52, v12, v7, v52
	v_mul_f16_sdwa v7, v12, v7 dst_sel:DWORD dst_unused:UNUSED_PAD src0_sel:WORD_1 src1_sel:DWORD
	v_fma_f16 v7, v12, v38, -v7
	v_mul_f16_sdwa v12, v13, v39 dst_sel:DWORD dst_unused:UNUSED_PAD src0_sel:WORD_1 src1_sel:DWORD
	v_lshrrev_b32_e32 v40, 16, v24
	v_fma_f16 v12, v13, v23, v12
	v_mul_f16_sdwa v23, v13, v23 dst_sel:DWORD dst_unused:UNUSED_PAD src0_sel:WORD_1 src1_sel:DWORD
	v_fma_f16 v13, v13, v39, -v23
	v_mul_f16_sdwa v23, v14, v40 dst_sel:DWORD dst_unused:UNUSED_PAD src0_sel:WORD_1 src1_sel:DWORD
	s_waitcnt lgkmcnt(1)
	v_lshrrev_b32_e32 v41, 16, v10
	v_fma_f16 v23, v14, v24, v23
	v_mul_f16_sdwa v24, v14, v24 dst_sel:DWORD dst_unused:UNUSED_PAD src0_sel:WORD_1 src1_sel:DWORD
	v_fma_f16 v14, v14, v40, -v24
	v_mul_f16_sdwa v24, v15, v41 dst_sel:DWORD dst_unused:UNUSED_PAD src0_sel:WORD_1 src1_sel:DWORD
	v_lshrrev_b32_e32 v42, 16, v11
	v_fma_f16 v24, v15, v10, v24
	v_mul_f16_sdwa v10, v15, v10 dst_sel:DWORD dst_unused:UNUSED_PAD src0_sel:WORD_1 src1_sel:DWORD
	v_fma_f16 v10, v15, v41, -v10
	;; [unrolled: 11-line block ×3, first 2 shown]
	v_mul_f16_sdwa v20, v21, v46 dst_sel:DWORD dst_unused:UNUSED_PAD src0_sel:WORD_1 src1_sel:DWORD
	v_fma_f16 v20, v21, v9, v20
	v_mul_f16_sdwa v9, v21, v9 dst_sel:DWORD dst_unused:UNUSED_PAD src0_sel:WORD_1 src1_sel:DWORD
	v_lshrrev_b32_e32 v33, 16, v6
	v_fma_f16 v9, v21, v46, -v9
	v_sub_f16_e32 v21, v6, v24
	v_sub_f16_e32 v10, v33, v10
	;; [unrolled: 1-line block ×8, first 2 shown]
	v_fma_f16 v6, v6, 2.0, -v21
	v_fma_f16 v24, v33, 2.0, -v10
	;; [unrolled: 1-line block ×8, first 2 shown]
	v_add_f16_e32 v8, v21, v8
	v_sub_f16_e32 v19, v10, v19
	v_add_f16_e32 v9, v15, v9
	v_sub_f16_e32 v20, v11, v20
	v_sub_f16_e32 v12, v6, v12
	v_sub_f16_e32 v13, v24, v13
	v_fma_f16 v21, v21, 2.0, -v8
	v_fma_f16 v10, v10, 2.0, -v19
	v_sub_f16_e32 v23, v33, v23
	v_sub_f16_e32 v14, v7, v14
	v_fma_f16 v15, v15, 2.0, -v9
	v_fma_f16 v11, v11, 2.0, -v20
	s_mov_b32 s14, 0xb9a8
	v_fma_f16 v6, v6, 2.0, -v12
	v_fma_f16 v24, v24, 2.0, -v13
	;; [unrolled: 1-line block ×4, first 2 shown]
	v_fma_f16 v38, v15, s14, v21
	v_fma_f16 v39, v11, s14, v10
	s_movk_i32 s15, 0x39a8
	v_sub_f16_e32 v33, v6, v33
	v_sub_f16_e32 v7, v24, v7
	v_fma_f16 v11, v11, s15, v38
	v_fma_f16 v15, v15, s14, v39
	;; [unrolled: 1-line block ×4, first 2 shown]
	v_fma_f16 v6, v6, 2.0, -v33
	v_fma_f16 v24, v24, 2.0, -v7
	;; [unrolled: 1-line block ×4, first 2 shown]
	v_add_f16_e32 v14, v12, v14
	v_sub_f16_e32 v23, v13, v23
	v_fma_f16 v20, v20, s15, v38
	v_fma_f16 v9, v9, s14, v39
	v_fma_f16 v12, v12, 2.0, -v14
	v_fma_f16 v13, v13, 2.0, -v23
	;; [unrolled: 1-line block ×4, first 2 shown]
	v_pack_b32_f16 v6, v6, v24
	v_pack_b32_f16 v10, v21, v10
	ds_write2_b32 v43, v6, v10 offset1:143
	v_pack_b32_f16 v6, v12, v13
	v_pack_b32_f16 v8, v8, v19
	ds_write2_b32 v37, v6, v8 offset0:30 offset1:173
	v_pack_b32_f16 v6, v33, v7
	v_pack_b32_f16 v7, v11, v15
	ds_write2_b32 v31, v6, v7 offset0:60 offset1:203
	;; [unrolled: 3-line block ×3, first 2 shown]
	s_and_saveexec_b64 s[4:5], s[2:3]
	s_cbranch_execz .LBB0_21
; %bb.20:
	v_mul_f16_sdwa v12, v2, v51 dst_sel:DWORD dst_unused:UNUSED_PAD src0_sel:WORD_1 src1_sel:DWORD
	v_mul_f16_sdwa v15, v2, v30 dst_sel:DWORD dst_unused:UNUSED_PAD src0_sel:WORD_1 src1_sel:DWORD
	v_fma_f16 v12, v2, v30, v12
	v_mul_f16_sdwa v13, v18, v49 dst_sel:DWORD dst_unused:UNUSED_PAD src0_sel:WORD_1 src1_sel:DWORD
	v_fma_f16 v2, v2, v51, -v15
	v_mul_f16_sdwa v15, v18, v28 dst_sel:DWORD dst_unused:UNUSED_PAD src0_sel:WORD_1 src1_sel:DWORD
	v_mul_f16_sdwa v8, v3, v50 dst_sel:DWORD dst_unused:UNUSED_PAD src0_sel:WORD_1 src1_sel:DWORD
	;; [unrolled: 1-line block ×3, first 2 shown]
	v_fma_f16 v13, v18, v28, v13
	v_fma_f16 v15, v18, v49, -v15
	v_mul_f16_sdwa v18, v0, v36 dst_sel:DWORD dst_unused:UNUSED_PAD src0_sel:WORD_1 src1_sel:DWORD
	v_mul_f16_sdwa v20, v3, v25 dst_sel:DWORD dst_unused:UNUSED_PAD src0_sel:WORD_1 src1_sel:DWORD
	v_mul_f16_sdwa v6, v1, v29 dst_sel:DWORD dst_unused:UNUSED_PAD src0_sel:WORD_1 src1_sel:DWORD
	v_mul_f16_sdwa v7, v17, v27 dst_sel:DWORD dst_unused:UNUSED_PAD src0_sel:WORD_1 src1_sel:DWORD
	v_fma_f16 v8, v3, v25, v8
	v_fma_f16 v10, v0, v36, -v10
	v_fma_f16 v0, v0, v5, v18
	v_mul_f16_sdwa v5, v16, v48 dst_sel:DWORD dst_unused:UNUSED_PAD src0_sel:WORD_1 src1_sel:DWORD
	v_fma_f16 v3, v3, v50, -v20
	v_mul_f16_sdwa v20, v1, v35 dst_sel:DWORD dst_unused:UNUSED_PAD src0_sel:WORD_1 src1_sel:DWORD
	v_fma_f16 v6, v1, v35, -v6
	v_fma_f16 v7, v17, v47, -v7
	v_mul_f16_sdwa v11, v16, v26 dst_sel:DWORD dst_unused:UNUSED_PAD src0_sel:WORD_1 src1_sel:DWORD
	v_fma_f16 v5, v16, v26, v5
	v_fma_f16 v1, v1, v29, v20
	v_mul_f16_sdwa v20, v17, v47 dst_sel:DWORD dst_unused:UNUSED_PAD src0_sel:WORD_1 src1_sel:DWORD
	v_sub_f16_e32 v7, v6, v7
	v_sub_f16_e32 v8, v4, v8
	v_fma_f16 v11, v16, v48, -v11
	v_sub_f16_e32 v15, v2, v15
	v_sub_f16_e32 v5, v0, v5
	v_fma_f16 v17, v17, v27, v20
	v_add_f16_e32 v9, v7, v8
	v_sub_f16_e32 v11, v10, v11
	v_sub_f16_e32 v13, v12, v13
	v_add_f16_e32 v16, v15, v5
	v_sub_f16_e32 v17, v1, v17
	v_sub_f16_e32 v14, v11, v13
	v_fma_f16 v18, v16, s15, v9
	v_sub_f16_e32 v3, v34, v3
	v_fma_f16 v4, v4, 2.0, -v8
	v_fma_f16 v1, v1, 2.0, -v17
	;; [unrolled: 1-line block ×4, first 2 shown]
	v_fma_f16 v18, v14, s15, v18
	v_sub_f16_e32 v20, v3, v17
	v_sub_f16_e32 v1, v4, v1
	;; [unrolled: 1-line block ×3, first 2 shown]
	v_fma_f16 v24, v34, 2.0, -v3
	v_fma_f16 v6, v6, 2.0, -v7
	;; [unrolled: 1-line block ×7, first 2 shown]
	v_add_f16_e32 v15, v1, v2
	v_sub_f16_e32 v6, v24, v6
	v_sub_f16_e32 v7, v0, v7
	v_fma_f16 v9, v11, 2.0, -v14
	v_fma_f16 v11, v5, s14, v8
	v_fma_f16 v3, v3, 2.0, -v20
	v_fma_f16 v17, v1, 2.0, -v15
	v_fma_f16 v11, v9, s15, v11
	v_fma_f16 v9, v9, s14, v3
	v_fma_f16 v1, v4, 2.0, -v1
	v_fma_f16 v0, v0, 2.0, -v7
	;; [unrolled: 1-line block ×4, first 2 shown]
	v_fma_f16 v21, v14, s15, v20
	v_fma_f16 v5, v5, s14, v9
	v_sub_f16_e32 v0, v1, v0
	v_sub_f16_e32 v2, v4, v2
	v_fma_f16 v21, v16, s14, v21
	v_sub_f16_e32 v12, v6, v7
	v_fma_f16 v8, v8, 2.0, -v11
	v_fma_f16 v3, v3, 2.0, -v5
	v_fma_f16 v1, v1, 2.0, -v0
	v_fma_f16 v4, v4, 2.0, -v2
	v_fma_f16 v23, v20, 2.0, -v21
	v_fma_f16 v13, v6, 2.0, -v12
	v_pack_b32_f16 v1, v1, v4
	v_pack_b32_f16 v3, v8, v3
	ds_write2_b32 v43, v1, v3 offset0:104 offset1:247
	v_pack_b32_f16 v1, v17, v13
	v_pack_b32_f16 v3, v19, v23
	v_add_u32_e32 v4, 0x600, v43
	ds_write2_b32 v4, v1, v3 offset0:6 offset1:149
	v_pack_b32_f16 v0, v0, v2
	v_pack_b32_f16 v1, v11, v5
	v_add_u32_e32 v2, 0xa00, v43
	ds_write2_b32 v2, v0, v1 offset0:36 offset1:179
	v_pack_b32_f16 v0, v15, v12
	v_pack_b32_f16 v1, v18, v21
	v_add_u32_e32 v2, 0xe00, v43
	ds_write2_b32 v2, v0, v1 offset0:66 offset1:209
.LBB0_21:
	s_or_b64 exec, exec, s[4:5]
	s_waitcnt lgkmcnt(0)
	s_barrier
	s_and_b64 exec, exec, s[0:1]
	s_cbranch_execz .LBB0_23
; %bb.22:
	global_load_dword v11, v43, s[6:7]
	global_load_dword v10, v43, s[6:7] offset:352
	ds_read_b32 v16, v43
	s_mov_b32 s14, 0x55ee191
	s_mov_b32 s15, 0x3f4ca4b3
	v_mad_u64_u32 v[2:3], s[0:1], s10, v22, 0
	s_waitcnt lgkmcnt(0)
	v_lshrrev_b32_e32 v17, 16, v16
	v_mad_u64_u32 v[4:5], s[0:1], s8, v44, 0
	v_mov_b32_e32 v8, s7
	s_movk_i32 s18, 0x1ff
	v_mad_u64_u32 v[20:21], s[0:1], s11, v22, v[3:4]
	v_add_co_u32_e32 v7, vcc, s6, v43
	v_mov_b32_e32 v6, 0x7c00
	v_addc_co_u32_e32 v8, vcc, 0, v8, vcc
	v_mad_u64_u32 v[21:22], s[0:1], s9, v44, v[5:6]
	s_movk_i32 s17, 0xffe
	v_mov_b32_e32 v3, v20
	ds_read2_b32 v[0:1], v43 offset0:88 offset1:176
	global_load_dword v12, v43, s[6:7] offset:704
	global_load_dword v13, v43, s[6:7] offset:1056
	;; [unrolled: 1-line block ×5, first 2 shown]
	s_movk_i32 s16, 0x40f
	s_mov_b32 s10, 0x8000
	v_lshlrev_b64 v[2:3], 2, v[2:3]
	s_movk_i32 s19, 0x1000
	s_waitcnt vmcnt(6)
	v_mul_f16_sdwa v18, v17, v11 dst_sel:DWORD dst_unused:UNUSED_PAD src0_sel:DWORD src1_sel:WORD_1
	v_fma_f16 v18, v16, v11, v18
	v_mul_f16_sdwa v16, v16, v11 dst_sel:DWORD dst_unused:UNUSED_PAD src0_sel:DWORD src1_sel:WORD_1
	v_cvt_f32_f16_e32 v18, v18
	v_fma_f16 v11, v11, v17, -v16
	v_cvt_f32_f16_e32 v11, v11
	v_cvt_f64_f32_e32 v[16:17], v18
	v_cvt_f64_f32_e32 v[18:19], v11
	s_waitcnt lgkmcnt(0)
	v_lshrrev_b32_e32 v11, 16, v0
	v_mul_f64 v[16:17], v[16:17], s[14:15]
	s_waitcnt vmcnt(5)
	v_mul_f16_sdwa v5, v11, v10 dst_sel:DWORD dst_unused:UNUSED_PAD src0_sel:DWORD src1_sel:WORD_1
	v_mul_f64 v[18:19], v[18:19], s[14:15]
	v_fma_f16 v5, v0, v10, v5
	v_mul_f16_sdwa v0, v0, v10 dst_sel:DWORD dst_unused:UNUSED_PAD src0_sel:DWORD src1_sel:WORD_1
	v_fma_f16 v0, v10, v11, -v0
	v_cvt_f32_f16_e32 v0, v0
	v_and_or_b32 v16, v17, s18, v16
	v_cmp_ne_u32_e32 vcc, 0, v16
	v_and_or_b32 v18, v19, s18, v18
	v_lshrrev_b32_e32 v20, 8, v17
	v_bfe_u32 v22, v17, 20, 11
	v_cndmask_b32_e64 v16, 0, 1, vcc
	v_cmp_ne_u32_e32 vcc, 0, v18
	v_lshrrev_b32_e32 v23, 8, v19
	v_bfe_u32 v24, v19, 20, 11
	v_sub_u32_e32 v25, 0x3f1, v22
	v_cndmask_b32_e64 v18, 0, 1, vcc
	v_and_or_b32 v16, v20, s17, v16
	v_sub_u32_e32 v26, 0x3f1, v24
	v_med3_i32 v20, v25, 0, 13
	v_and_or_b32 v18, v23, s17, v18
	v_or_b32_e32 v25, 0x1000, v16
	v_add_u32_e32 v22, 0xfffffc10, v22
	v_med3_i32 v23, v26, 0, 13
	v_cmp_ne_u32_e32 vcc, 0, v16
	v_or_b32_e32 v27, 0x1000, v18
	v_lshrrev_b32_e32 v29, v20, v25
	v_add_u32_e32 v24, 0xfffffc10, v24
	v_lshl_or_b32 v26, v22, 12, v16
	v_cndmask_b32_e64 v16, 0, 1, vcc
	v_cmp_ne_u32_e32 vcc, 0, v18
	v_lshrrev_b32_e32 v30, v23, v27
	v_lshlrev_b32_e32 v20, v20, v29
	v_lshl_or_b32 v28, v24, 12, v18
	v_cndmask_b32_e64 v18, 0, 1, vcc
	v_lshlrev_b32_e32 v23, v23, v30
	v_cmp_ne_u32_e32 vcc, v20, v25
	v_cndmask_b32_e64 v20, 0, 1, vcc
	v_cmp_ne_u32_e32 vcc, v23, v27
	v_cndmask_b32_e64 v23, 0, 1, vcc
	v_or_b32_e32 v20, v29, v20
	v_cmp_gt_i32_e32 vcc, 1, v22
	v_cndmask_b32_e32 v20, v26, v20, vcc
	v_or_b32_e32 v23, v30, v23
	v_cmp_gt_i32_e32 vcc, 1, v24
	v_and_b32_e32 v25, 7, v20
	v_cndmask_b32_e32 v23, v28, v23, vcc
	v_cmp_lt_i32_e32 vcc, 5, v25
	v_cmp_eq_u32_e64 s[0:1], 3, v25
	v_lshrrev_b32_e32 v20, 2, v20
	v_and_b32_e32 v26, 7, v23
	s_or_b64 vcc, s[0:1], vcc
	v_cmp_lt_i32_e64 s[2:3], 5, v26
	v_cmp_eq_u32_e64 s[4:5], 3, v26
	v_addc_co_u32_e32 v20, vcc, 0, v20, vcc
	v_lshrrev_b32_e32 v23, 2, v23
	s_or_b64 vcc, s[4:5], s[2:3]
	v_addc_co_u32_e32 v23, vcc, 0, v23, vcc
	v_cmp_gt_i32_e32 vcc, 31, v22
	v_cndmask_b32_e32 v20, v6, v20, vcc
	v_cmp_gt_i32_e32 vcc, 31, v24
	v_lshl_or_b32 v16, v16, 9, v6
	v_cndmask_b32_e32 v23, v6, v23, vcc
	v_cmp_eq_u32_e32 vcc, s16, v22
	v_lshrrev_b32_e32 v17, 16, v17
	v_cndmask_b32_e32 v16, v20, v16, vcc
	v_and_or_b32 v16, v17, s10, v16
	v_cvt_f32_f16_e32 v17, v5
	v_lshl_or_b32 v18, v18, 9, v6
	v_cmp_eq_u32_e32 vcc, s16, v24
	v_lshrrev_b32_e32 v19, 16, v19
	v_cndmask_b32_e32 v18, v23, v18, vcc
	v_and_or_b32 v18, v19, s10, v18
	v_and_b32_e32 v19, 0xffff, v16
	v_cvt_f64_f32_e32 v[16:17], v17
	v_mov_b32_e32 v5, v21
	v_lshl_or_b32 v18, v18, 16, v19
	v_mov_b32_e32 v19, s13
	v_mul_f64 v[16:17], v[16:17], s[14:15]
	v_add_co_u32_e32 v20, vcc, s12, v2
	v_addc_co_u32_e32 v19, vcc, v19, v3, vcc
	v_lshlrev_b64 v[2:3], 2, v[4:5]
	s_mul_hi_u32 s2, s8, 0x160
	v_add_co_u32_e32 v2, vcc, v20, v2
	v_addc_co_u32_e32 v3, vcc, v19, v3, vcc
	v_and_or_b32 v4, v17, s18, v16
	v_cmp_ne_u32_e32 vcc, 0, v4
	v_cndmask_b32_e64 v4, 0, 1, vcc
	v_lshrrev_b32_e32 v5, 8, v17
	v_and_or_b32 v16, v5, s17, v4
	v_bfe_u32 v5, v17, 20, 11
	global_store_dword v[2:3], v18, off
	v_sub_u32_e32 v18, 0x3f1, v5
	v_or_b32_e32 v4, 0x1000, v16
	v_med3_i32 v18, v18, 0, 13
	v_lshrrev_b32_e32 v19, v18, v4
	v_lshlrev_b32_e32 v18, v18, v19
	v_cmp_ne_u32_e32 vcc, v18, v4
	v_cndmask_b32_e64 v4, 0, 1, vcc
	v_add_u32_e32 v18, 0xfffffc10, v5
	v_or_b32_e32 v4, v19, v4
	v_lshl_or_b32 v5, v18, 12, v16
	v_cmp_gt_i32_e32 vcc, 1, v18
	v_cndmask_b32_e32 v4, v5, v4, vcc
	v_and_b32_e32 v5, 7, v4
	v_cmp_lt_i32_e32 vcc, 5, v5
	v_cmp_eq_u32_e64 s[0:1], 3, v5
	v_lshrrev_b32_e32 v10, 2, v4
	v_cvt_f64_f32_e32 v[4:5], v0
	s_or_b64 vcc, s[0:1], vcc
	v_addc_co_u32_e32 v0, vcc, 0, v10, vcc
	v_mul_f64 v[4:5], v[4:5], s[14:15]
	v_cmp_gt_i32_e32 vcc, 31, v18
	v_cndmask_b32_e32 v0, v6, v0, vcc
	v_cmp_ne_u32_e32 vcc, 0, v16
	v_cndmask_b32_e64 v10, 0, 1, vcc
	v_lshl_or_b32 v10, v10, 9, v6
	v_cmp_eq_u32_e32 vcc, s16, v18
	v_cndmask_b32_e32 v0, v0, v10, vcc
	v_and_or_b32 v4, v5, s18, v4
	v_lshrrev_b32_e32 v10, 16, v17
	v_cmp_ne_u32_e32 vcc, 0, v4
	v_and_or_b32 v0, v10, s10, v0
	v_cndmask_b32_e64 v4, 0, 1, vcc
	v_lshrrev_b32_e32 v10, 8, v5
	v_bfe_u32 v11, v5, 20, 11
	v_and_or_b32 v4, v10, s17, v4
	v_sub_u32_e32 v16, 0x3f1, v11
	v_or_b32_e32 v10, 0x1000, v4
	v_med3_i32 v16, v16, 0, 13
	v_lshrrev_b32_e32 v17, v16, v10
	v_lshlrev_b32_e32 v16, v16, v17
	v_cmp_ne_u32_e32 vcc, v16, v10
	v_cndmask_b32_e64 v10, 0, 1, vcc
	v_add_u32_e32 v11, 0xfffffc10, v11
	v_or_b32_e32 v10, v17, v10
	v_lshl_or_b32 v16, v11, 12, v4
	v_cmp_gt_i32_e32 vcc, 1, v11
	v_cndmask_b32_e32 v10, v16, v10, vcc
	v_and_b32_e32 v16, 7, v10
	v_cmp_lt_i32_e32 vcc, 5, v16
	v_cmp_eq_u32_e64 s[0:1], 3, v16
	v_lshrrev_b32_e32 v10, 2, v10
	s_or_b64 vcc, s[0:1], vcc
	v_addc_co_u32_e32 v10, vcc, 0, v10, vcc
	v_cmp_gt_i32_e32 vcc, 31, v11
	v_cndmask_b32_e32 v10, v6, v10, vcc
	v_cmp_ne_u32_e32 vcc, 0, v4
	v_cndmask_b32_e64 v4, 0, 1, vcc
	v_lshl_or_b32 v4, v4, 9, v6
	v_cmp_eq_u32_e32 vcc, s16, v11
	v_cndmask_b32_e32 v4, v10, v4, vcc
	v_lshrrev_b32_e32 v10, 16, v1
	s_waitcnt vmcnt(5)
	v_mul_f16_sdwa v11, v10, v12 dst_sel:DWORD dst_unused:UNUSED_PAD src0_sel:DWORD src1_sel:WORD_1
	v_fma_f16 v11, v1, v12, v11
	v_cvt_f32_f16_e32 v11, v11
	v_lshrrev_b32_e32 v5, 16, v5
	v_and_or_b32 v4, v5, s10, v4
	v_and_b32_e32 v0, 0xffff, v0
	v_lshl_or_b32 v0, v4, 16, v0
	v_cvt_f64_f32_e32 v[4:5], v11
	s_mul_i32 s0, s9, 0x160
	s_add_i32 s2, s2, s0
	s_mul_i32 s3, s8, 0x160
	v_mul_f64 v[4:5], v[4:5], s[14:15]
	v_mov_b32_e32 v11, s2
	v_add_co_u32_e32 v2, vcc, s3, v2
	v_addc_co_u32_e32 v3, vcc, v3, v11, vcc
	global_store_dword v[2:3], v0, off
	v_mul_f16_sdwa v1, v1, v12 dst_sel:DWORD dst_unused:UNUSED_PAD src0_sel:DWORD src1_sel:WORD_1
	v_and_or_b32 v0, v5, s18, v4
	v_cmp_ne_u32_e32 vcc, 0, v0
	v_cndmask_b32_e64 v0, 0, 1, vcc
	v_lshrrev_b32_e32 v4, 8, v5
	v_bfe_u32 v11, v5, 20, 11
	v_and_or_b32 v4, v4, s17, v0
	v_sub_u32_e32 v16, 0x3f1, v11
	v_or_b32_e32 v0, 0x1000, v4
	v_med3_i32 v16, v16, 0, 13
	v_lshrrev_b32_e32 v17, v16, v0
	v_lshlrev_b32_e32 v16, v16, v17
	v_fma_f16 v1, v12, v10, -v1
	v_cmp_ne_u32_e32 vcc, v16, v0
	v_cvt_f32_f16_e32 v1, v1
	v_cndmask_b32_e64 v0, 0, 1, vcc
	v_add_u32_e32 v11, 0xfffffc10, v11
	v_or_b32_e32 v0, v17, v0
	v_lshl_or_b32 v16, v11, 12, v4
	v_cmp_gt_i32_e32 vcc, 1, v11
	v_cndmask_b32_e32 v0, v16, v0, vcc
	v_and_b32_e32 v16, 7, v0
	v_lshrrev_b32_e32 v10, 2, v0
	v_cvt_f64_f32_e32 v[0:1], v1
	v_cmp_lt_i32_e32 vcc, 5, v16
	v_cmp_eq_u32_e64 s[0:1], 3, v16
	s_or_b64 vcc, s[0:1], vcc
	v_mul_f64 v[0:1], v[0:1], s[14:15]
	v_addc_co_u32_e32 v10, vcc, 0, v10, vcc
	v_cmp_gt_i32_e32 vcc, 31, v11
	v_cndmask_b32_e32 v10, v6, v10, vcc
	v_cmp_ne_u32_e32 vcc, 0, v4
	v_cndmask_b32_e64 v4, 0, 1, vcc
	v_lshl_or_b32 v4, v4, 9, v6
	v_cmp_eq_u32_e32 vcc, s16, v11
	v_and_or_b32 v0, v1, s18, v0
	v_cndmask_b32_e32 v4, v10, v4, vcc
	v_lshrrev_b32_e32 v5, 16, v5
	v_cmp_ne_u32_e32 vcc, 0, v0
	v_and_or_b32 v12, v5, s10, v4
	v_cndmask_b32_e64 v0, 0, 1, vcc
	v_lshrrev_b32_e32 v4, 8, v1
	v_bfe_u32 v5, v1, 20, 11
	v_and_or_b32 v0, v4, s17, v0
	v_sub_u32_e32 v10, 0x3f1, v5
	v_or_b32_e32 v4, 0x1000, v0
	v_med3_i32 v10, v10, 0, 13
	v_lshrrev_b32_e32 v11, v10, v4
	v_lshlrev_b32_e32 v10, v10, v11
	v_cmp_ne_u32_e32 vcc, v10, v4
	v_cndmask_b32_e64 v4, 0, 1, vcc
	v_add_u32_e32 v10, 0xfffffc10, v5
	v_or_b32_e32 v4, v11, v4
	v_lshl_or_b32 v5, v10, 12, v0
	v_cmp_gt_i32_e32 vcc, 1, v10
	v_cndmask_b32_e32 v4, v5, v4, vcc
	v_and_b32_e32 v5, 7, v4
	v_cmp_lt_i32_e32 vcc, 5, v5
	v_cmp_eq_u32_e64 s[0:1], 3, v5
	v_lshrrev_b32_e32 v4, 2, v4
	s_or_b64 vcc, s[0:1], vcc
	v_addc_co_u32_e32 v11, vcc, 0, v4, vcc
	v_add_u32_e32 v4, 0x400, v43
	ds_read2_b32 v[4:5], v4 offset0:8 offset1:96
	v_cmp_gt_i32_e32 vcc, 31, v10
	v_cndmask_b32_e32 v11, v6, v11, vcc
	v_cmp_ne_u32_e32 vcc, 0, v0
	v_cndmask_b32_e64 v0, 0, 1, vcc
	s_waitcnt lgkmcnt(0)
	v_lshrrev_b32_e32 v16, 16, v4
	s_waitcnt vmcnt(5)
	v_mul_f16_sdwa v17, v16, v13 dst_sel:DWORD dst_unused:UNUSED_PAD src0_sel:DWORD src1_sel:WORD_1
	v_fma_f16 v17, v4, v13, v17
	v_cvt_f32_f16_e32 v17, v17
	v_lshl_or_b32 v0, v0, 9, v6
	v_cmp_eq_u32_e32 vcc, s16, v10
	v_cndmask_b32_e32 v0, v11, v0, vcc
	v_cvt_f64_f32_e32 v[10:11], v17
	v_lshrrev_b32_e32 v1, 16, v1
	v_and_or_b32 v17, v1, s10, v0
	v_add_co_u32_e32 v2, vcc, s3, v2
	v_mul_f64 v[0:1], v[10:11], s[14:15]
	v_mov_b32_e32 v11, s2
	v_and_b32_e32 v12, 0xffff, v12
	v_addc_co_u32_e32 v3, vcc, v3, v11, vcc
	v_lshl_or_b32 v10, v17, 16, v12
	global_store_dword v[2:3], v10, off
	v_mul_f16_sdwa v4, v4, v13 dst_sel:DWORD dst_unused:UNUSED_PAD src0_sel:DWORD src1_sel:WORD_1
	v_and_or_b32 v0, v1, s18, v0
	v_cmp_ne_u32_e32 vcc, 0, v0
	v_cndmask_b32_e64 v0, 0, 1, vcc
	v_lshrrev_b32_e32 v10, 8, v1
	v_bfe_u32 v11, v1, 20, 11
	v_and_or_b32 v0, v10, s17, v0
	v_sub_u32_e32 v12, 0x3f1, v11
	v_or_b32_e32 v10, 0x1000, v0
	v_med3_i32 v12, v12, 0, 13
	v_lshrrev_b32_e32 v17, v12, v10
	v_lshlrev_b32_e32 v12, v12, v17
	v_cmp_ne_u32_e32 vcc, v12, v10
	v_fma_f16 v4, v13, v16, -v4
	v_cndmask_b32_e64 v10, 0, 1, vcc
	v_add_u32_e32 v12, 0xfffffc10, v11
	v_cvt_f32_f16_e32 v4, v4
	v_or_b32_e32 v10, v17, v10
	v_lshl_or_b32 v11, v12, 12, v0
	v_cmp_gt_i32_e32 vcc, 1, v12
	v_cndmask_b32_e32 v10, v11, v10, vcc
	v_and_b32_e32 v11, 7, v10
	v_cmp_lt_i32_e32 vcc, 5, v11
	v_cmp_eq_u32_e64 s[0:1], 3, v11
	v_lshrrev_b32_e32 v13, 2, v10
	v_cvt_f64_f32_e32 v[10:11], v4
	s_or_b64 vcc, s[0:1], vcc
	v_addc_co_u32_e32 v4, vcc, 0, v13, vcc
	v_mul_f64 v[10:11], v[10:11], s[14:15]
	v_cmp_gt_i32_e32 vcc, 31, v12
	v_cndmask_b32_e32 v4, v6, v4, vcc
	v_cmp_ne_u32_e32 vcc, 0, v0
	v_cndmask_b32_e64 v0, 0, 1, vcc
	v_lshl_or_b32 v0, v0, 9, v6
	v_cmp_eq_u32_e32 vcc, s16, v12
	v_cndmask_b32_e32 v0, v4, v0, vcc
	v_lshrrev_b32_e32 v1, 16, v1
	v_and_or_b32 v4, v1, s10, v0
	v_and_or_b32 v0, v11, s18, v10
	v_cmp_ne_u32_e32 vcc, 0, v0
	v_cndmask_b32_e64 v0, 0, 1, vcc
	v_lshrrev_b32_e32 v1, 8, v11
	v_bfe_u32 v10, v11, 20, 11
	v_and_or_b32 v0, v1, s17, v0
	v_sub_u32_e32 v12, 0x3f1, v10
	v_or_b32_e32 v1, 0x1000, v0
	v_med3_i32 v12, v12, 0, 13
	v_lshrrev_b32_e32 v13, v12, v1
	v_lshlrev_b32_e32 v12, v12, v13
	v_cmp_ne_u32_e32 vcc, v12, v1
	v_cndmask_b32_e64 v1, 0, 1, vcc
	v_add_u32_e32 v10, 0xfffffc10, v10
	v_or_b32_e32 v1, v13, v1
	v_lshl_or_b32 v12, v10, 12, v0
	v_cmp_gt_i32_e32 vcc, 1, v10
	v_cndmask_b32_e32 v1, v12, v1, vcc
	v_and_b32_e32 v12, 7, v1
	v_cmp_lt_i32_e32 vcc, 5, v12
	v_cmp_eq_u32_e64 s[0:1], 3, v12
	v_lshrrev_b32_e32 v12, 16, v5
	v_lshrrev_b32_e32 v1, 2, v1
	s_or_b64 vcc, s[0:1], vcc
	s_waitcnt vmcnt(5)
	v_mul_f16_sdwa v13, v12, v14 dst_sel:DWORD dst_unused:UNUSED_PAD src0_sel:DWORD src1_sel:WORD_1
	v_addc_co_u32_e32 v1, vcc, 0, v1, vcc
	v_fma_f16 v13, v5, v14, v13
	v_cmp_gt_i32_e32 vcc, 31, v10
	v_cvt_f32_f16_e32 v13, v13
	v_cndmask_b32_e32 v1, v6, v1, vcc
	v_cmp_ne_u32_e32 vcc, 0, v0
	v_cndmask_b32_e64 v0, 0, 1, vcc
	v_lshl_or_b32 v0, v0, 9, v6
	v_cmp_eq_u32_e32 vcc, s16, v10
	v_cndmask_b32_e32 v10, v1, v0, vcc
	v_cvt_f64_f32_e32 v[0:1], v13
	v_lshrrev_b32_e32 v11, 16, v11
	v_and_or_b32 v10, v11, s10, v10
	v_and_b32_e32 v4, 0xffff, v4
	v_mul_f64 v[0:1], v[0:1], s[14:15]
	v_lshl_or_b32 v4, v10, 16, v4
	v_mov_b32_e32 v10, s2
	v_add_co_u32_e32 v2, vcc, s3, v2
	v_addc_co_u32_e32 v3, vcc, v3, v10, vcc
	global_store_dword v[2:3], v4, off
	v_and_or_b32 v0, v1, s18, v0
	v_cmp_ne_u32_e32 vcc, 0, v0
	v_cndmask_b32_e64 v0, 0, 1, vcc
	v_lshrrev_b32_e32 v4, 8, v1
	v_bfe_u32 v10, v1, 20, 11
	v_and_or_b32 v0, v4, s17, v0
	v_sub_u32_e32 v11, 0x3f1, v10
	v_or_b32_e32 v4, 0x1000, v0
	v_med3_i32 v11, v11, 0, 13
	v_lshrrev_b32_e32 v13, v11, v4
	v_lshlrev_b32_e32 v11, v11, v13
	v_mul_f16_sdwa v5, v5, v14 dst_sel:DWORD dst_unused:UNUSED_PAD src0_sel:DWORD src1_sel:WORD_1
	v_cmp_ne_u32_e32 vcc, v11, v4
	v_fma_f16 v5, v14, v12, -v5
	v_cndmask_b32_e64 v4, 0, 1, vcc
	v_add_u32_e32 v10, 0xfffffc10, v10
	v_cvt_f32_f16_e32 v5, v5
	v_or_b32_e32 v4, v13, v4
	v_lshl_or_b32 v11, v10, 12, v0
	v_cmp_gt_i32_e32 vcc, 1, v10
	v_cndmask_b32_e32 v4, v11, v4, vcc
	v_and_b32_e32 v11, 7, v4
	v_cmp_lt_i32_e32 vcc, 5, v11
	v_cmp_eq_u32_e64 s[0:1], 3, v11
	v_lshrrev_b32_e32 v11, 2, v4
	v_cvt_f64_f32_e32 v[4:5], v5
	s_or_b64 vcc, s[0:1], vcc
	v_addc_co_u32_e32 v11, vcc, 0, v11, vcc
	v_mul_f64 v[4:5], v[4:5], s[14:15]
	v_cmp_gt_i32_e32 vcc, 31, v10
	v_cndmask_b32_e32 v11, v6, v11, vcc
	v_cmp_ne_u32_e32 vcc, 0, v0
	v_cndmask_b32_e64 v0, 0, 1, vcc
	v_lshl_or_b32 v0, v0, 9, v6
	v_cmp_eq_u32_e32 vcc, s16, v10
	v_cndmask_b32_e32 v0, v11, v0, vcc
	v_lshrrev_b32_e32 v1, 16, v1
	v_and_or_b32 v12, v1, s10, v0
	v_and_or_b32 v0, v5, s18, v4
	v_cmp_ne_u32_e32 vcc, 0, v0
	v_cndmask_b32_e64 v0, 0, 1, vcc
	v_lshrrev_b32_e32 v1, 8, v5
	v_and_or_b32 v4, v1, s17, v0
	v_bfe_u32 v1, v5, 20, 11
	v_sub_u32_e32 v10, 0x3f1, v1
	v_or_b32_e32 v0, 0x1000, v4
	v_med3_i32 v10, v10, 0, 13
	v_lshrrev_b32_e32 v11, v10, v0
	v_lshlrev_b32_e32 v10, v10, v11
	v_cmp_ne_u32_e32 vcc, v10, v0
	v_cndmask_b32_e64 v0, 0, 1, vcc
	v_add_u32_e32 v10, 0xfffffc10, v1
	v_or_b32_e32 v0, v11, v0
	v_lshl_or_b32 v1, v10, 12, v4
	v_cmp_gt_i32_e32 vcc, 1, v10
	v_cndmask_b32_e32 v0, v1, v0, vcc
	v_and_b32_e32 v1, 7, v0
	v_cmp_lt_i32_e32 vcc, 5, v1
	v_cmp_eq_u32_e64 s[0:1], 3, v1
	v_lshrrev_b32_e32 v0, 2, v0
	s_or_b64 vcc, s[0:1], vcc
	v_addc_co_u32_e32 v11, vcc, 0, v0, vcc
	v_add_u32_e32 v0, 0x600, v43
	ds_read2_b32 v[0:1], v0 offset0:56 offset1:144
	v_cmp_gt_i32_e32 vcc, 31, v10
	v_cndmask_b32_e32 v11, v6, v11, vcc
	v_cmp_ne_u32_e32 vcc, 0, v4
	v_cndmask_b32_e64 v4, 0, 1, vcc
	s_waitcnt lgkmcnt(0)
	v_lshrrev_b32_e32 v13, 16, v0
	s_waitcnt vmcnt(5)
	v_mul_f16_sdwa v14, v13, v15 dst_sel:DWORD dst_unused:UNUSED_PAD src0_sel:DWORD src1_sel:WORD_1
	v_fma_f16 v14, v0, v15, v14
	v_cvt_f32_f16_e32 v14, v14
	v_lshl_or_b32 v4, v4, 9, v6
	v_cmp_eq_u32_e32 vcc, s16, v10
	v_cndmask_b32_e32 v4, v11, v4, vcc
	v_cvt_f64_f32_e32 v[10:11], v14
	v_lshrrev_b32_e32 v5, 16, v5
	v_and_or_b32 v14, v5, s10, v4
	v_add_co_u32_e32 v2, vcc, s3, v2
	v_mul_f64 v[4:5], v[10:11], s[14:15]
	v_mov_b32_e32 v11, s2
	v_and_b32_e32 v12, 0xffff, v12
	v_addc_co_u32_e32 v3, vcc, v3, v11, vcc
	v_lshl_or_b32 v10, v14, 16, v12
	global_store_dword v[2:3], v10, off
	v_mul_f16_sdwa v0, v0, v15 dst_sel:DWORD dst_unused:UNUSED_PAD src0_sel:DWORD src1_sel:WORD_1
	v_and_or_b32 v4, v5, s18, v4
	v_cmp_ne_u32_e32 vcc, 0, v4
	v_cndmask_b32_e64 v4, 0, 1, vcc
	v_lshrrev_b32_e32 v10, 8, v5
	v_bfe_u32 v11, v5, 20, 11
	v_and_or_b32 v4, v10, s17, v4
	v_sub_u32_e32 v12, 0x3f1, v11
	v_or_b32_e32 v10, 0x1000, v4
	v_med3_i32 v12, v12, 0, 13
	v_lshrrev_b32_e32 v14, v12, v10
	v_lshlrev_b32_e32 v12, v12, v14
	v_cmp_ne_u32_e32 vcc, v12, v10
	v_fma_f16 v0, v15, v13, -v0
	v_cndmask_b32_e64 v10, 0, 1, vcc
	v_add_u32_e32 v12, 0xfffffc10, v11
	v_cvt_f32_f16_e32 v0, v0
	v_or_b32_e32 v10, v14, v10
	v_lshl_or_b32 v11, v12, 12, v4
	v_cmp_gt_i32_e32 vcc, 1, v12
	v_cndmask_b32_e32 v10, v11, v10, vcc
	v_and_b32_e32 v11, 7, v10
	v_cmp_lt_i32_e32 vcc, 5, v11
	v_cmp_eq_u32_e64 s[0:1], 3, v11
	v_lshrrev_b32_e32 v13, 2, v10
	v_cvt_f64_f32_e32 v[10:11], v0
	s_or_b64 vcc, s[0:1], vcc
	v_addc_co_u32_e32 v0, vcc, 0, v13, vcc
	v_mul_f64 v[10:11], v[10:11], s[14:15]
	v_cmp_gt_i32_e32 vcc, 31, v12
	v_cndmask_b32_e32 v0, v6, v0, vcc
	v_cmp_ne_u32_e32 vcc, 0, v4
	v_cndmask_b32_e64 v4, 0, 1, vcc
	v_lshl_or_b32 v4, v4, 9, v6
	v_cmp_eq_u32_e32 vcc, s16, v12
	v_cndmask_b32_e32 v0, v0, v4, vcc
	v_lshrrev_b32_e32 v4, 16, v5
	v_and_or_b32 v0, v4, s10, v0
	v_and_or_b32 v4, v11, s18, v10
	v_cmp_ne_u32_e32 vcc, 0, v4
	v_cndmask_b32_e64 v4, 0, 1, vcc
	v_lshrrev_b32_e32 v5, 8, v11
	v_bfe_u32 v10, v11, 20, 11
	v_and_or_b32 v4, v5, s17, v4
	v_sub_u32_e32 v12, 0x3f1, v10
	v_or_b32_e32 v5, 0x1000, v4
	v_med3_i32 v12, v12, 0, 13
	v_lshrrev_b32_e32 v13, v12, v5
	v_lshlrev_b32_e32 v12, v12, v13
	v_cmp_ne_u32_e32 vcc, v12, v5
	v_cndmask_b32_e64 v5, 0, 1, vcc
	v_add_u32_e32 v10, 0xfffffc10, v10
	v_or_b32_e32 v5, v13, v5
	v_lshl_or_b32 v12, v10, 12, v4
	v_cmp_gt_i32_e32 vcc, 1, v10
	v_cndmask_b32_e32 v5, v12, v5, vcc
	v_and_b32_e32 v12, 7, v5
	v_cmp_lt_i32_e32 vcc, 5, v12
	v_cmp_eq_u32_e64 s[0:1], 3, v12
	v_lshrrev_b32_e32 v5, 2, v5
	s_or_b64 vcc, s[0:1], vcc
	v_addc_co_u32_e32 v5, vcc, 0, v5, vcc
	v_cmp_gt_i32_e32 vcc, 31, v10
	v_cndmask_b32_e32 v5, v6, v5, vcc
	v_cmp_ne_u32_e32 vcc, 0, v4
	v_cndmask_b32_e64 v4, 0, 1, vcc
	v_lshl_or_b32 v4, v4, 9, v6
	v_cmp_eq_u32_e32 vcc, s16, v10
	v_cndmask_b32_e32 v10, v5, v4, vcc
	v_lshrrev_b32_e32 v11, 16, v11
	v_and_or_b32 v10, v11, s10, v10
	global_load_dword v11, v43, s[6:7] offset:2464
	v_lshrrev_b32_e32 v12, 16, v1
	s_waitcnt vmcnt(6)
	v_mul_f16_sdwa v13, v12, v9 dst_sel:DWORD dst_unused:UNUSED_PAD src0_sel:DWORD src1_sel:WORD_1
	v_fma_f16 v13, v1, v9, v13
	v_cvt_f32_f16_e32 v13, v13
	v_and_b32_e32 v0, 0xffff, v0
	v_lshl_or_b32 v0, v10, 16, v0
	v_mov_b32_e32 v10, s2
	v_cvt_f64_f32_e32 v[4:5], v13
	v_add_co_u32_e32 v2, vcc, s3, v2
	v_addc_co_u32_e32 v3, vcc, v3, v10, vcc
	v_mul_f64 v[4:5], v[4:5], s[14:15]
	global_store_dword v[2:3], v0, off
	v_mul_f16_sdwa v1, v1, v9 dst_sel:DWORD dst_unused:UNUSED_PAD src0_sel:DWORD src1_sel:WORD_1
	v_fma_f16 v1, v9, v12, -v1
	v_cvt_f32_f16_e32 v1, v1
	v_and_or_b32 v0, v5, s18, v4
	v_cmp_ne_u32_e32 vcc, 0, v0
	v_cndmask_b32_e64 v0, 0, 1, vcc
	v_lshrrev_b32_e32 v4, 8, v5
	v_bfe_u32 v10, v5, 20, 11
	v_and_or_b32 v4, v4, s17, v0
	v_sub_u32_e32 v13, 0x3f1, v10
	v_or_b32_e32 v0, 0x1000, v4
	v_med3_i32 v13, v13, 0, 13
	v_lshrrev_b32_e32 v14, v13, v0
	v_lshlrev_b32_e32 v13, v13, v14
	v_cmp_ne_u32_e32 vcc, v13, v0
	v_cndmask_b32_e64 v0, 0, 1, vcc
	v_add_u32_e32 v10, 0xfffffc10, v10
	v_or_b32_e32 v0, v14, v0
	v_lshl_or_b32 v13, v10, 12, v4
	v_cmp_gt_i32_e32 vcc, 1, v10
	v_cndmask_b32_e32 v0, v13, v0, vcc
	v_and_b32_e32 v13, 7, v0
	v_lshrrev_b32_e32 v9, 2, v0
	v_cvt_f64_f32_e32 v[0:1], v1
	v_cmp_lt_i32_e32 vcc, 5, v13
	v_cmp_eq_u32_e64 s[0:1], 3, v13
	s_or_b64 vcc, s[0:1], vcc
	v_mul_f64 v[0:1], v[0:1], s[14:15]
	v_addc_co_u32_e32 v9, vcc, 0, v9, vcc
	v_cmp_gt_i32_e32 vcc, 31, v10
	v_cndmask_b32_e32 v9, v6, v9, vcc
	v_cmp_ne_u32_e32 vcc, 0, v4
	v_cndmask_b32_e64 v4, 0, 1, vcc
	v_lshl_or_b32 v4, v4, 9, v6
	v_cmp_eq_u32_e32 vcc, s16, v10
	v_and_or_b32 v0, v1, s18, v0
	v_cndmask_b32_e32 v4, v9, v4, vcc
	v_lshrrev_b32_e32 v5, 16, v5
	v_cmp_ne_u32_e32 vcc, 0, v0
	v_and_or_b32 v12, v5, s10, v4
	v_cndmask_b32_e64 v0, 0, 1, vcc
	v_lshrrev_b32_e32 v4, 8, v1
	v_bfe_u32 v5, v1, 20, 11
	v_and_or_b32 v0, v4, s17, v0
	v_sub_u32_e32 v9, 0x3f1, v5
	v_or_b32_e32 v4, 0x1000, v0
	v_med3_i32 v9, v9, 0, 13
	v_lshrrev_b32_e32 v10, v9, v4
	v_lshlrev_b32_e32 v9, v9, v10
	v_cmp_ne_u32_e32 vcc, v9, v4
	v_cndmask_b32_e64 v4, 0, 1, vcc
	v_add_u32_e32 v9, 0xfffffc10, v5
	v_or_b32_e32 v4, v10, v4
	v_lshl_or_b32 v5, v9, 12, v0
	v_cmp_gt_i32_e32 vcc, 1, v9
	v_cndmask_b32_e32 v4, v5, v4, vcc
	v_and_b32_e32 v5, 7, v4
	v_cmp_lt_i32_e32 vcc, 5, v5
	v_cmp_eq_u32_e64 s[0:1], 3, v5
	v_lshrrev_b32_e32 v4, 2, v4
	s_or_b64 vcc, s[0:1], vcc
	v_addc_co_u32_e32 v10, vcc, 0, v4, vcc
	v_add_u32_e32 v4, 0x800, v43
	ds_read2_b32 v[4:5], v4 offset0:104 offset1:192
	global_load_dword v14, v43, s[6:7] offset:2816
	global_load_dword v15, v43, s[6:7] offset:3168
	;; [unrolled: 1-line block ×4, first 2 shown]
	v_cmp_gt_i32_e32 vcc, 31, v9
	v_cndmask_b32_e32 v10, v6, v10, vcc
	v_cmp_ne_u32_e32 vcc, 0, v0
	s_waitcnt lgkmcnt(0)
	v_lshrrev_b32_e32 v13, 16, v4
	s_waitcnt vmcnt(5)
	v_mul_f16_sdwa v18, v13, v11 dst_sel:DWORD dst_unused:UNUSED_PAD src0_sel:DWORD src1_sel:WORD_1
	v_fma_f16 v18, v4, v11, v18
	v_cvt_f32_f16_e32 v18, v18
	v_cndmask_b32_e64 v0, 0, 1, vcc
	v_lshl_or_b32 v0, v0, 9, v6
	v_cmp_eq_u32_e32 vcc, s16, v9
	v_cndmask_b32_e32 v0, v10, v0, vcc
	v_cvt_f64_f32_e32 v[9:10], v18
	v_lshrrev_b32_e32 v1, 16, v1
	v_and_or_b32 v18, v1, s10, v0
	v_add_co_u32_e32 v2, vcc, s3, v2
	v_mul_f64 v[0:1], v[9:10], s[14:15]
	v_mov_b32_e32 v10, s2
	v_and_b32_e32 v12, 0xffff, v12
	v_addc_co_u32_e32 v3, vcc, v3, v10, vcc
	v_lshl_or_b32 v9, v18, 16, v12
	global_store_dword v[2:3], v9, off
	v_mul_f16_sdwa v4, v4, v11 dst_sel:DWORD dst_unused:UNUSED_PAD src0_sel:DWORD src1_sel:WORD_1
	v_and_or_b32 v0, v1, s18, v0
	v_cmp_ne_u32_e32 vcc, 0, v0
	v_cndmask_b32_e64 v0, 0, 1, vcc
	v_lshrrev_b32_e32 v9, 8, v1
	v_bfe_u32 v10, v1, 20, 11
	v_and_or_b32 v0, v9, s17, v0
	v_sub_u32_e32 v12, 0x3f1, v10
	v_or_b32_e32 v9, 0x1000, v0
	v_med3_i32 v12, v12, 0, 13
	v_lshrrev_b32_e32 v18, v12, v9
	v_lshlrev_b32_e32 v12, v12, v18
	v_cmp_ne_u32_e32 vcc, v12, v9
	v_fma_f16 v4, v11, v13, -v4
	v_cndmask_b32_e64 v9, 0, 1, vcc
	v_add_u32_e32 v12, 0xfffffc10, v10
	v_cvt_f32_f16_e32 v4, v4
	v_or_b32_e32 v9, v18, v9
	v_lshl_or_b32 v10, v12, 12, v0
	v_cmp_gt_i32_e32 vcc, 1, v12
	v_cndmask_b32_e32 v9, v10, v9, vcc
	v_and_b32_e32 v10, 7, v9
	v_cmp_lt_i32_e32 vcc, 5, v10
	v_cmp_eq_u32_e64 s[0:1], 3, v10
	v_lshrrev_b32_e32 v11, 2, v9
	v_cvt_f64_f32_e32 v[9:10], v4
	s_or_b64 vcc, s[0:1], vcc
	v_addc_co_u32_e32 v4, vcc, 0, v11, vcc
	v_mul_f64 v[9:10], v[9:10], s[14:15]
	v_cmp_gt_i32_e32 vcc, 31, v12
	v_cndmask_b32_e32 v4, v6, v4, vcc
	v_cmp_ne_u32_e32 vcc, 0, v0
	v_cndmask_b32_e64 v0, 0, 1, vcc
	v_lshl_or_b32 v0, v0, 9, v6
	v_cmp_eq_u32_e32 vcc, s16, v12
	v_cndmask_b32_e32 v0, v4, v0, vcc
	v_lshrrev_b32_e32 v1, 16, v1
	v_and_or_b32 v4, v1, s10, v0
	v_and_or_b32 v0, v10, s18, v9
	v_cmp_ne_u32_e32 vcc, 0, v0
	v_cndmask_b32_e64 v0, 0, 1, vcc
	v_lshrrev_b32_e32 v1, 8, v10
	v_bfe_u32 v9, v10, 20, 11
	v_and_or_b32 v0, v1, s17, v0
	v_sub_u32_e32 v11, 0x3f1, v9
	v_or_b32_e32 v1, 0x1000, v0
	v_med3_i32 v11, v11, 0, 13
	v_lshrrev_b32_e32 v12, v11, v1
	v_lshlrev_b32_e32 v11, v11, v12
	v_cmp_ne_u32_e32 vcc, v11, v1
	v_cndmask_b32_e64 v1, 0, 1, vcc
	v_add_u32_e32 v9, 0xfffffc10, v9
	v_or_b32_e32 v1, v12, v1
	v_lshl_or_b32 v11, v9, 12, v0
	v_cmp_gt_i32_e32 vcc, 1, v9
	v_cndmask_b32_e32 v1, v11, v1, vcc
	v_and_b32_e32 v11, 7, v1
	v_cmp_lt_i32_e32 vcc, 5, v11
	v_cmp_eq_u32_e64 s[0:1], 3, v11
	v_lshrrev_b32_e32 v11, 16, v5
	v_lshrrev_b32_e32 v1, 2, v1
	s_or_b64 vcc, s[0:1], vcc
	s_waitcnt vmcnt(4)
	v_mul_f16_sdwa v12, v11, v14 dst_sel:DWORD dst_unused:UNUSED_PAD src0_sel:DWORD src1_sel:WORD_1
	v_addc_co_u32_e32 v1, vcc, 0, v1, vcc
	v_fma_f16 v12, v5, v14, v12
	v_cmp_gt_i32_e32 vcc, 31, v9
	v_cvt_f32_f16_e32 v12, v12
	v_cndmask_b32_e32 v1, v6, v1, vcc
	v_cmp_ne_u32_e32 vcc, 0, v0
	v_cndmask_b32_e64 v0, 0, 1, vcc
	v_lshl_or_b32 v0, v0, 9, v6
	v_cmp_eq_u32_e32 vcc, s16, v9
	v_cndmask_b32_e32 v9, v1, v0, vcc
	v_cvt_f64_f32_e32 v[0:1], v12
	v_lshrrev_b32_e32 v10, 16, v10
	v_and_or_b32 v9, v10, s10, v9
	v_and_b32_e32 v4, 0xffff, v4
	v_mul_f64 v[0:1], v[0:1], s[14:15]
	v_lshl_or_b32 v4, v9, 16, v4
	v_mov_b32_e32 v9, s2
	v_add_co_u32_e32 v2, vcc, s3, v2
	v_addc_co_u32_e32 v3, vcc, v3, v9, vcc
	global_store_dword v[2:3], v4, off
	v_and_or_b32 v0, v1, s18, v0
	v_cmp_ne_u32_e32 vcc, 0, v0
	v_cndmask_b32_e64 v0, 0, 1, vcc
	v_lshrrev_b32_e32 v4, 8, v1
	v_bfe_u32 v9, v1, 20, 11
	v_and_or_b32 v0, v4, s17, v0
	v_sub_u32_e32 v10, 0x3f1, v9
	v_or_b32_e32 v4, 0x1000, v0
	v_med3_i32 v10, v10, 0, 13
	v_lshrrev_b32_e32 v12, v10, v4
	v_lshlrev_b32_e32 v10, v10, v12
	v_mul_f16_sdwa v5, v5, v14 dst_sel:DWORD dst_unused:UNUSED_PAD src0_sel:DWORD src1_sel:WORD_1
	v_cmp_ne_u32_e32 vcc, v10, v4
	v_fma_f16 v5, v14, v11, -v5
	v_cndmask_b32_e64 v4, 0, 1, vcc
	v_add_u32_e32 v9, 0xfffffc10, v9
	v_cvt_f32_f16_e32 v5, v5
	v_or_b32_e32 v4, v12, v4
	v_lshl_or_b32 v10, v9, 12, v0
	v_cmp_gt_i32_e32 vcc, 1, v9
	v_cndmask_b32_e32 v4, v10, v4, vcc
	v_and_b32_e32 v10, 7, v4
	v_cmp_lt_i32_e32 vcc, 5, v10
	v_cmp_eq_u32_e64 s[0:1], 3, v10
	v_lshrrev_b32_e32 v10, 2, v4
	v_cvt_f64_f32_e32 v[4:5], v5
	s_or_b64 vcc, s[0:1], vcc
	v_addc_co_u32_e32 v10, vcc, 0, v10, vcc
	v_mul_f64 v[4:5], v[4:5], s[14:15]
	v_cmp_gt_i32_e32 vcc, 31, v9
	v_cndmask_b32_e32 v10, v6, v10, vcc
	v_cmp_ne_u32_e32 vcc, 0, v0
	v_cndmask_b32_e64 v0, 0, 1, vcc
	v_lshl_or_b32 v0, v0, 9, v6
	v_cmp_eq_u32_e32 vcc, s16, v9
	v_cndmask_b32_e32 v0, v10, v0, vcc
	v_lshrrev_b32_e32 v1, 16, v1
	v_and_or_b32 v11, v1, s10, v0
	v_and_or_b32 v0, v5, s18, v4
	v_cmp_ne_u32_e32 vcc, 0, v0
	v_cndmask_b32_e64 v0, 0, 1, vcc
	v_lshrrev_b32_e32 v1, 8, v5
	v_and_or_b32 v4, v1, s17, v0
	v_bfe_u32 v1, v5, 20, 11
	v_sub_u32_e32 v9, 0x3f1, v1
	v_or_b32_e32 v0, 0x1000, v4
	v_med3_i32 v9, v9, 0, 13
	v_lshrrev_b32_e32 v10, v9, v0
	v_lshlrev_b32_e32 v9, v9, v10
	v_cmp_ne_u32_e32 vcc, v9, v0
	v_cndmask_b32_e64 v0, 0, 1, vcc
	v_add_u32_e32 v9, 0xfffffc10, v1
	v_or_b32_e32 v0, v10, v0
	v_lshl_or_b32 v1, v9, 12, v4
	v_cmp_gt_i32_e32 vcc, 1, v9
	v_cndmask_b32_e32 v0, v1, v0, vcc
	v_and_b32_e32 v1, 7, v0
	v_cmp_lt_i32_e32 vcc, 5, v1
	v_cmp_eq_u32_e64 s[0:1], 3, v1
	v_lshrrev_b32_e32 v0, 2, v0
	s_or_b64 vcc, s[0:1], vcc
	v_addc_co_u32_e32 v10, vcc, 0, v0, vcc
	v_add_u32_e32 v0, 0xc00, v43
	ds_read2_b32 v[0:1], v0 offset0:24 offset1:112
	v_cmp_gt_i32_e32 vcc, 31, v9
	v_cndmask_b32_e32 v10, v6, v10, vcc
	v_cmp_ne_u32_e32 vcc, 0, v4
	v_cndmask_b32_e64 v4, 0, 1, vcc
	s_waitcnt lgkmcnt(0)
	v_lshrrev_b32_e32 v12, 16, v0
	s_waitcnt vmcnt(4)
	v_mul_f16_sdwa v13, v12, v15 dst_sel:DWORD dst_unused:UNUSED_PAD src0_sel:DWORD src1_sel:WORD_1
	v_fma_f16 v13, v0, v15, v13
	v_cvt_f32_f16_e32 v13, v13
	v_lshl_or_b32 v4, v4, 9, v6
	v_cmp_eq_u32_e32 vcc, s16, v9
	v_cndmask_b32_e32 v4, v10, v4, vcc
	v_cvt_f64_f32_e32 v[9:10], v13
	v_lshrrev_b32_e32 v5, 16, v5
	v_and_or_b32 v13, v5, s10, v4
	v_add_co_u32_e32 v2, vcc, s3, v2
	v_mul_f64 v[4:5], v[9:10], s[14:15]
	v_mov_b32_e32 v10, s2
	v_and_b32_e32 v11, 0xffff, v11
	v_addc_co_u32_e32 v3, vcc, v3, v10, vcc
	v_lshl_or_b32 v9, v13, 16, v11
	global_store_dword v[2:3], v9, off
	v_mul_f16_sdwa v0, v0, v15 dst_sel:DWORD dst_unused:UNUSED_PAD src0_sel:DWORD src1_sel:WORD_1
	v_and_or_b32 v4, v5, s18, v4
	v_cmp_ne_u32_e32 vcc, 0, v4
	v_cndmask_b32_e64 v4, 0, 1, vcc
	v_lshrrev_b32_e32 v9, 8, v5
	v_bfe_u32 v10, v5, 20, 11
	v_and_or_b32 v4, v9, s17, v4
	v_sub_u32_e32 v11, 0x3f1, v10
	v_or_b32_e32 v9, 0x1000, v4
	v_med3_i32 v11, v11, 0, 13
	v_lshrrev_b32_e32 v13, v11, v9
	v_lshlrev_b32_e32 v11, v11, v13
	v_cmp_ne_u32_e32 vcc, v11, v9
	v_fma_f16 v0, v15, v12, -v0
	v_cndmask_b32_e64 v9, 0, 1, vcc
	v_add_u32_e32 v11, 0xfffffc10, v10
	v_cvt_f32_f16_e32 v0, v0
	v_or_b32_e32 v9, v13, v9
	v_lshl_or_b32 v10, v11, 12, v4
	v_cmp_gt_i32_e32 vcc, 1, v11
	v_cndmask_b32_e32 v9, v10, v9, vcc
	v_and_b32_e32 v10, 7, v9
	v_cmp_lt_i32_e32 vcc, 5, v10
	v_cmp_eq_u32_e64 s[0:1], 3, v10
	v_lshrrev_b32_e32 v12, 2, v9
	v_cvt_f64_f32_e32 v[9:10], v0
	s_or_b64 vcc, s[0:1], vcc
	v_addc_co_u32_e32 v0, vcc, 0, v12, vcc
	v_mul_f64 v[9:10], v[9:10], s[14:15]
	v_cmp_gt_i32_e32 vcc, 31, v11
	v_cndmask_b32_e32 v0, v6, v0, vcc
	v_cmp_ne_u32_e32 vcc, 0, v4
	v_cndmask_b32_e64 v4, 0, 1, vcc
	v_lshl_or_b32 v4, v4, 9, v6
	v_cmp_eq_u32_e32 vcc, s16, v11
	v_cndmask_b32_e32 v0, v0, v4, vcc
	v_lshrrev_b32_e32 v4, 16, v5
	v_and_or_b32 v0, v4, s10, v0
	v_and_or_b32 v4, v10, s18, v9
	v_cmp_ne_u32_e32 vcc, 0, v4
	v_cndmask_b32_e64 v4, 0, 1, vcc
	v_lshrrev_b32_e32 v5, 8, v10
	v_bfe_u32 v9, v10, 20, 11
	v_and_or_b32 v4, v5, s17, v4
	v_sub_u32_e32 v11, 0x3f1, v9
	v_or_b32_e32 v5, 0x1000, v4
	v_med3_i32 v11, v11, 0, 13
	v_lshrrev_b32_e32 v12, v11, v5
	v_lshlrev_b32_e32 v11, v11, v12
	v_cmp_ne_u32_e32 vcc, v11, v5
	v_cndmask_b32_e64 v5, 0, 1, vcc
	v_add_u32_e32 v9, 0xfffffc10, v9
	v_or_b32_e32 v5, v12, v5
	v_lshl_or_b32 v11, v9, 12, v4
	v_cmp_gt_i32_e32 vcc, 1, v9
	v_cndmask_b32_e32 v5, v11, v5, vcc
	v_and_b32_e32 v11, 7, v5
	v_cmp_lt_i32_e32 vcc, 5, v11
	v_cmp_eq_u32_e64 s[0:1], 3, v11
	v_lshrrev_b32_e32 v11, 16, v1
	v_lshrrev_b32_e32 v5, 2, v5
	s_or_b64 vcc, s[0:1], vcc
	s_waitcnt vmcnt(4)
	v_mul_f16_sdwa v12, v11, v16 dst_sel:DWORD dst_unused:UNUSED_PAD src0_sel:DWORD src1_sel:WORD_1
	v_addc_co_u32_e32 v5, vcc, 0, v5, vcc
	v_fma_f16 v12, v1, v16, v12
	v_cmp_gt_i32_e32 vcc, 31, v9
	v_cvt_f32_f16_e32 v12, v12
	v_cndmask_b32_e32 v5, v6, v5, vcc
	v_cmp_ne_u32_e32 vcc, 0, v4
	v_cndmask_b32_e64 v4, 0, 1, vcc
	v_lshl_or_b32 v4, v4, 9, v6
	v_cmp_eq_u32_e32 vcc, s16, v9
	v_cndmask_b32_e32 v9, v5, v4, vcc
	v_cvt_f64_f32_e32 v[4:5], v12
	v_lshrrev_b32_e32 v10, 16, v10
	v_and_or_b32 v9, v10, s10, v9
	v_and_b32_e32 v0, 0xffff, v0
	v_mul_f64 v[4:5], v[4:5], s[14:15]
	v_lshl_or_b32 v0, v9, 16, v0
	v_mov_b32_e32 v9, s2
	v_add_co_u32_e32 v2, vcc, s3, v2
	v_addc_co_u32_e32 v3, vcc, v3, v9, vcc
	global_store_dword v[2:3], v0, off
	v_and_or_b32 v0, v5, s18, v4
	v_cmp_ne_u32_e32 vcc, 0, v0
	v_cndmask_b32_e64 v0, 0, 1, vcc
	v_lshrrev_b32_e32 v4, 8, v5
	v_bfe_u32 v9, v5, 20, 11
	v_and_or_b32 v4, v4, s17, v0
	v_sub_u32_e32 v10, 0x3f1, v9
	v_or_b32_e32 v0, 0x1000, v4
	v_med3_i32 v10, v10, 0, 13
	v_lshrrev_b32_e32 v12, v10, v0
	v_lshlrev_b32_e32 v10, v10, v12
	v_mul_f16_sdwa v1, v1, v16 dst_sel:DWORD dst_unused:UNUSED_PAD src0_sel:DWORD src1_sel:WORD_1
	v_cmp_ne_u32_e32 vcc, v10, v0
	v_fma_f16 v1, v16, v11, -v1
	v_cndmask_b32_e64 v0, 0, 1, vcc
	v_add_u32_e32 v9, 0xfffffc10, v9
	v_cvt_f32_f16_e32 v1, v1
	v_or_b32_e32 v0, v12, v0
	v_lshl_or_b32 v10, v9, 12, v4
	v_cmp_gt_i32_e32 vcc, 1, v9
	v_cndmask_b32_e32 v0, v10, v0, vcc
	v_and_b32_e32 v10, 7, v0
	v_cmp_lt_i32_e32 vcc, 5, v10
	v_cmp_eq_u32_e64 s[0:1], 3, v10
	v_lshrrev_b32_e32 v10, 2, v0
	v_cvt_f64_f32_e32 v[0:1], v1
	s_or_b64 vcc, s[0:1], vcc
	v_addc_co_u32_e32 v10, vcc, 0, v10, vcc
	v_mul_f64 v[0:1], v[0:1], s[14:15]
	v_cmp_gt_i32_e32 vcc, 31, v9
	v_cndmask_b32_e32 v10, v6, v10, vcc
	v_cmp_ne_u32_e32 vcc, 0, v4
	v_cndmask_b32_e64 v4, 0, 1, vcc
	v_lshl_or_b32 v4, v4, 9, v6
	v_cmp_eq_u32_e32 vcc, s16, v9
	v_cndmask_b32_e32 v4, v10, v4, vcc
	v_and_or_b32 v0, v1, s18, v0
	v_lshrrev_b32_e32 v5, 16, v5
	v_cmp_ne_u32_e32 vcc, 0, v0
	v_and_or_b32 v11, v5, s10, v4
	v_cndmask_b32_e64 v0, 0, 1, vcc
	v_lshrrev_b32_e32 v4, 8, v1
	v_bfe_u32 v5, v1, 20, 11
	v_and_or_b32 v0, v4, s17, v0
	v_sub_u32_e32 v9, 0x3f1, v5
	v_or_b32_e32 v4, 0x1000, v0
	v_med3_i32 v9, v9, 0, 13
	v_lshrrev_b32_e32 v10, v9, v4
	v_lshlrev_b32_e32 v9, v9, v10
	v_cmp_ne_u32_e32 vcc, v9, v4
	v_cndmask_b32_e64 v4, 0, 1, vcc
	v_add_u32_e32 v9, 0xfffffc10, v5
	v_or_b32_e32 v4, v10, v4
	v_lshl_or_b32 v5, v9, 12, v0
	v_cmp_gt_i32_e32 vcc, 1, v9
	v_cndmask_b32_e32 v4, v5, v4, vcc
	v_and_b32_e32 v5, 7, v4
	v_cmp_lt_i32_e32 vcc, 5, v5
	v_cmp_eq_u32_e64 s[0:1], 3, v5
	v_lshrrev_b32_e32 v4, 2, v4
	s_or_b64 vcc, s[0:1], vcc
	v_addc_co_u32_e32 v10, vcc, 0, v4, vcc
	v_add_u32_e32 v4, 0xe00, v43
	ds_read2_b32 v[4:5], v4 offset0:72 offset1:160
	v_cmp_gt_i32_e32 vcc, 31, v9
	v_cndmask_b32_e32 v10, v6, v10, vcc
	v_cmp_ne_u32_e32 vcc, 0, v0
	v_cndmask_b32_e64 v0, 0, 1, vcc
	s_waitcnt lgkmcnt(0)
	v_lshrrev_b32_e32 v12, 16, v4
	s_waitcnt vmcnt(4)
	v_mul_f16_sdwa v13, v12, v17 dst_sel:DWORD dst_unused:UNUSED_PAD src0_sel:DWORD src1_sel:WORD_1
	v_fma_f16 v13, v4, v17, v13
	v_cvt_f32_f16_e32 v13, v13
	v_lshl_or_b32 v0, v0, 9, v6
	v_cmp_eq_u32_e32 vcc, s16, v9
	v_cndmask_b32_e32 v0, v10, v0, vcc
	v_cvt_f64_f32_e32 v[9:10], v13
	v_lshrrev_b32_e32 v1, 16, v1
	v_and_or_b32 v13, v1, s10, v0
	v_add_co_u32_e32 v2, vcc, s3, v2
	v_mul_f64 v[0:1], v[9:10], s[14:15]
	v_mov_b32_e32 v10, s2
	v_and_b32_e32 v11, 0xffff, v11
	v_addc_co_u32_e32 v3, vcc, v3, v10, vcc
	v_lshl_or_b32 v9, v13, 16, v11
	global_store_dword v[2:3], v9, off
	v_mul_f16_sdwa v4, v4, v17 dst_sel:DWORD dst_unused:UNUSED_PAD src0_sel:DWORD src1_sel:WORD_1
	v_and_or_b32 v0, v1, s18, v0
	v_cmp_ne_u32_e32 vcc, 0, v0
	v_cndmask_b32_e64 v0, 0, 1, vcc
	v_lshrrev_b32_e32 v9, 8, v1
	v_bfe_u32 v10, v1, 20, 11
	v_and_or_b32 v0, v9, s17, v0
	v_sub_u32_e32 v11, 0x3f1, v10
	v_or_b32_e32 v9, 0x1000, v0
	v_med3_i32 v11, v11, 0, 13
	v_lshrrev_b32_e32 v13, v11, v9
	v_lshlrev_b32_e32 v11, v11, v13
	v_cmp_ne_u32_e32 vcc, v11, v9
	v_fma_f16 v4, v17, v12, -v4
	v_cndmask_b32_e64 v9, 0, 1, vcc
	v_add_u32_e32 v11, 0xfffffc10, v10
	v_cvt_f32_f16_e32 v4, v4
	v_or_b32_e32 v9, v13, v9
	v_lshl_or_b32 v10, v11, 12, v0
	v_cmp_gt_i32_e32 vcc, 1, v11
	v_cndmask_b32_e32 v9, v10, v9, vcc
	v_and_b32_e32 v10, 7, v9
	v_cmp_lt_i32_e32 vcc, 5, v10
	v_cmp_eq_u32_e64 s[0:1], 3, v10
	v_lshrrev_b32_e32 v12, 2, v9
	v_cvt_f64_f32_e32 v[9:10], v4
	s_or_b64 vcc, s[0:1], vcc
	v_addc_co_u32_e32 v4, vcc, 0, v12, vcc
	v_mul_f64 v[9:10], v[9:10], s[14:15]
	v_cmp_gt_i32_e32 vcc, 31, v11
	v_cndmask_b32_e32 v4, v6, v4, vcc
	v_cmp_ne_u32_e32 vcc, 0, v0
	v_cndmask_b32_e64 v0, 0, 1, vcc
	v_lshl_or_b32 v0, v0, 9, v6
	v_cmp_eq_u32_e32 vcc, s16, v11
	v_cndmask_b32_e32 v0, v4, v0, vcc
	v_lshrrev_b32_e32 v1, 16, v1
	v_and_or_b32 v0, v1, s10, v0
	v_and_or_b32 v1, v10, s18, v9
	v_cmp_ne_u32_e32 vcc, 0, v1
	v_cndmask_b32_e64 v1, 0, 1, vcc
	v_lshrrev_b32_e32 v4, 8, v10
	v_bfe_u32 v9, v10, 20, 11
	v_and_or_b32 v1, v4, s17, v1
	v_sub_u32_e32 v11, 0x3f1, v9
	v_or_b32_e32 v4, 0x1000, v1
	v_med3_i32 v11, v11, 0, 13
	v_lshrrev_b32_e32 v12, v11, v4
	v_lshlrev_b32_e32 v11, v11, v12
	v_cmp_ne_u32_e32 vcc, v11, v4
	v_cndmask_b32_e64 v4, 0, 1, vcc
	v_add_u32_e32 v9, 0xfffffc10, v9
	v_or_b32_e32 v4, v12, v4
	v_lshl_or_b32 v11, v9, 12, v1
	v_cmp_gt_i32_e32 vcc, 1, v9
	v_cndmask_b32_e32 v4, v11, v4, vcc
	v_and_b32_e32 v11, 7, v4
	v_cmp_lt_i32_e32 vcc, 5, v11
	v_cmp_eq_u32_e64 s[0:1], 3, v11
	v_lshrrev_b32_e32 v4, 2, v4
	s_or_b64 vcc, s[0:1], vcc
	v_addc_co_u32_e32 v4, vcc, 0, v4, vcc
	v_cmp_gt_i32_e32 vcc, 31, v9
	v_cndmask_b32_e32 v4, v6, v4, vcc
	v_cmp_ne_u32_e32 vcc, 0, v1
	v_cndmask_b32_e64 v1, 0, 1, vcc
	v_lshl_or_b32 v1, v1, 9, v6
	v_cmp_eq_u32_e32 vcc, s16, v9
	v_cndmask_b32_e32 v1, v4, v1, vcc
	v_lshrrev_b32_e32 v4, 16, v10
	v_and_or_b32 v1, v4, s10, v1
	v_and_b32_e32 v0, 0xffff, v0
	v_lshl_or_b32 v4, v1, 16, v0
	v_mov_b32_e32 v1, s2
	v_add_co_u32_e32 v0, vcc, s3, v2
	v_addc_co_u32_e32 v1, vcc, v3, v1, vcc
	v_add_co_u32_e32 v2, vcc, s19, v7
	global_store_dword v[0:1], v4, off
	v_addc_co_u32_e32 v3, vcc, 0, v8, vcc
	global_load_dword v4, v[2:3], off offset:128
	v_lshrrev_b32_e32 v7, 16, v5
	s_waitcnt vmcnt(0)
	v_mul_f16_sdwa v2, v7, v4 dst_sel:DWORD dst_unused:UNUSED_PAD src0_sel:DWORD src1_sel:WORD_1
	v_fma_f16 v2, v5, v4, v2
	v_cvt_f32_f16_e32 v2, v2
	v_mul_f16_sdwa v5, v5, v4 dst_sel:DWORD dst_unused:UNUSED_PAD src0_sel:DWORD src1_sel:WORD_1
	v_fma_f16 v4, v4, v7, -v5
	v_cvt_f32_f16_e32 v4, v4
	v_cvt_f64_f32_e32 v[2:3], v2
	v_cvt_f64_f32_e32 v[4:5], v4
	v_mul_f64 v[2:3], v[2:3], s[14:15]
	v_mul_f64 v[4:5], v[4:5], s[14:15]
	v_and_or_b32 v2, v3, s18, v2
	v_cmp_ne_u32_e32 vcc, 0, v2
	v_cndmask_b32_e64 v2, 0, 1, vcc
	v_lshrrev_b32_e32 v8, 8, v3
	v_bfe_u32 v9, v3, 20, 11
	v_and_or_b32 v2, v8, s17, v2
	v_sub_u32_e32 v10, 0x3f1, v9
	v_or_b32_e32 v8, 0x1000, v2
	v_med3_i32 v10, v10, 0, 13
	v_lshrrev_b32_e32 v11, v10, v8
	v_lshlrev_b32_e32 v10, v10, v11
	v_cmp_ne_u32_e32 vcc, v10, v8
	v_cndmask_b32_e64 v8, 0, 1, vcc
	v_add_u32_e32 v9, 0xfffffc10, v9
	v_or_b32_e32 v8, v11, v8
	v_lshl_or_b32 v10, v9, 12, v2
	v_cmp_gt_i32_e32 vcc, 1, v9
	v_cndmask_b32_e32 v8, v10, v8, vcc
	v_and_b32_e32 v10, 7, v8
	v_cmp_lt_i32_e32 vcc, 5, v10
	v_cmp_eq_u32_e64 s[0:1], 3, v10
	v_lshrrev_b32_e32 v7, 2, v8
	s_or_b64 vcc, s[0:1], vcc
	v_addc_co_u32_e32 v7, vcc, 0, v7, vcc
	v_cmp_gt_i32_e32 vcc, 31, v9
	v_cndmask_b32_e32 v7, v6, v7, vcc
	v_cmp_ne_u32_e32 vcc, 0, v2
	v_cndmask_b32_e64 v2, 0, 1, vcc
	v_lshl_or_b32 v2, v2, 9, v6
	v_cmp_eq_u32_e32 vcc, s16, v9
	v_cndmask_b32_e32 v2, v7, v2, vcc
	v_lshrrev_b32_e32 v3, 16, v3
	v_and_or_b32 v2, v3, s10, v2
	v_and_or_b32 v3, v5, s18, v4
	v_cmp_ne_u32_e32 vcc, 0, v3
	v_cndmask_b32_e64 v3, 0, 1, vcc
	v_lshrrev_b32_e32 v4, 8, v5
	v_bfe_u32 v7, v5, 20, 11
	v_and_or_b32 v3, v4, s17, v3
	v_sub_u32_e32 v8, 0x3f1, v7
	v_or_b32_e32 v4, 0x1000, v3
	v_med3_i32 v8, v8, 0, 13
	v_lshrrev_b32_e32 v9, v8, v4
	v_lshlrev_b32_e32 v8, v8, v9
	v_cmp_ne_u32_e32 vcc, v8, v4
	v_cndmask_b32_e64 v4, 0, 1, vcc
	v_add_u32_e32 v7, 0xfffffc10, v7
	v_or_b32_e32 v4, v9, v4
	v_lshl_or_b32 v8, v7, 12, v3
	v_cmp_gt_i32_e32 vcc, 1, v7
	v_cndmask_b32_e32 v4, v8, v4, vcc
	v_and_b32_e32 v8, 7, v4
	v_cmp_lt_i32_e32 vcc, 5, v8
	v_cmp_eq_u32_e64 s[0:1], 3, v8
	v_lshrrev_b32_e32 v4, 2, v4
	s_or_b64 vcc, s[0:1], vcc
	v_addc_co_u32_e32 v4, vcc, 0, v4, vcc
	v_cmp_gt_i32_e32 vcc, 31, v7
	v_cndmask_b32_e32 v4, v6, v4, vcc
	v_cmp_ne_u32_e32 vcc, 0, v3
	v_cndmask_b32_e64 v3, 0, 1, vcc
	v_lshl_or_b32 v3, v3, 9, v6
	v_cmp_eq_u32_e32 vcc, s16, v7
	v_cndmask_b32_e32 v3, v4, v3, vcc
	v_lshrrev_b32_e32 v4, 16, v5
	v_and_or_b32 v3, v4, s10, v3
	v_and_b32_e32 v2, 0xffff, v2
	v_lshl_or_b32 v2, v3, 16, v2
	v_mov_b32_e32 v3, s2
	v_add_co_u32_e32 v0, vcc, s3, v0
	v_addc_co_u32_e32 v1, vcc, v1, v3, vcc
	global_store_dword v[0:1], v2, off
.LBB0_23:
	s_endpgm
	.section	.rodata,"a",@progbits
	.p2align	6, 0x0
	.amdhsa_kernel bluestein_single_back_len1144_dim1_half_op_CI_CI
		.amdhsa_group_segment_fixed_size 4576
		.amdhsa_private_segment_fixed_size 0
		.amdhsa_kernarg_size 104
		.amdhsa_user_sgpr_count 6
		.amdhsa_user_sgpr_private_segment_buffer 1
		.amdhsa_user_sgpr_dispatch_ptr 0
		.amdhsa_user_sgpr_queue_ptr 0
		.amdhsa_user_sgpr_kernarg_segment_ptr 1
		.amdhsa_user_sgpr_dispatch_id 0
		.amdhsa_user_sgpr_flat_scratch_init 0
		.amdhsa_user_sgpr_private_segment_size 0
		.amdhsa_uses_dynamic_stack 0
		.amdhsa_system_sgpr_private_segment_wavefront_offset 0
		.amdhsa_system_sgpr_workgroup_id_x 1
		.amdhsa_system_sgpr_workgroup_id_y 0
		.amdhsa_system_sgpr_workgroup_id_z 0
		.amdhsa_system_sgpr_workgroup_info 0
		.amdhsa_system_vgpr_workitem_id 0
		.amdhsa_next_free_vgpr 164
		.amdhsa_next_free_sgpr 30
		.amdhsa_reserve_vcc 1
		.amdhsa_reserve_flat_scratch 0
		.amdhsa_float_round_mode_32 0
		.amdhsa_float_round_mode_16_64 0
		.amdhsa_float_denorm_mode_32 3
		.amdhsa_float_denorm_mode_16_64 3
		.amdhsa_dx10_clamp 1
		.amdhsa_ieee_mode 1
		.amdhsa_fp16_overflow 0
		.amdhsa_exception_fp_ieee_invalid_op 0
		.amdhsa_exception_fp_denorm_src 0
		.amdhsa_exception_fp_ieee_div_zero 0
		.amdhsa_exception_fp_ieee_overflow 0
		.amdhsa_exception_fp_ieee_underflow 0
		.amdhsa_exception_fp_ieee_inexact 0
		.amdhsa_exception_int_div_zero 0
	.end_amdhsa_kernel
	.text
.Lfunc_end0:
	.size	bluestein_single_back_len1144_dim1_half_op_CI_CI, .Lfunc_end0-bluestein_single_back_len1144_dim1_half_op_CI_CI
                                        ; -- End function
	.section	.AMDGPU.csdata,"",@progbits
; Kernel info:
; codeLenInByte = 23284
; NumSgprs: 34
; NumVgprs: 164
; ScratchSize: 0
; MemoryBound: 0
; FloatMode: 240
; IeeeMode: 1
; LDSByteSize: 4576 bytes/workgroup (compile time only)
; SGPRBlocks: 4
; VGPRBlocks: 40
; NumSGPRsForWavesPerEU: 34
; NumVGPRsForWavesPerEU: 164
; Occupancy: 1
; WaveLimiterHint : 1
; COMPUTE_PGM_RSRC2:SCRATCH_EN: 0
; COMPUTE_PGM_RSRC2:USER_SGPR: 6
; COMPUTE_PGM_RSRC2:TRAP_HANDLER: 0
; COMPUTE_PGM_RSRC2:TGID_X_EN: 1
; COMPUTE_PGM_RSRC2:TGID_Y_EN: 0
; COMPUTE_PGM_RSRC2:TGID_Z_EN: 0
; COMPUTE_PGM_RSRC2:TIDIG_COMP_CNT: 0
	.type	__hip_cuid_31aa7f29049eda06,@object ; @__hip_cuid_31aa7f29049eda06
	.section	.bss,"aw",@nobits
	.globl	__hip_cuid_31aa7f29049eda06
__hip_cuid_31aa7f29049eda06:
	.byte	0                               ; 0x0
	.size	__hip_cuid_31aa7f29049eda06, 1

	.ident	"AMD clang version 19.0.0git (https://github.com/RadeonOpenCompute/llvm-project roc-6.4.0 25133 c7fe45cf4b819c5991fe208aaa96edf142730f1d)"
	.section	".note.GNU-stack","",@progbits
	.addrsig
	.addrsig_sym __hip_cuid_31aa7f29049eda06
	.amdgpu_metadata
---
amdhsa.kernels:
  - .args:
      - .actual_access:  read_only
        .address_space:  global
        .offset:         0
        .size:           8
        .value_kind:     global_buffer
      - .actual_access:  read_only
        .address_space:  global
        .offset:         8
        .size:           8
        .value_kind:     global_buffer
      - .actual_access:  read_only
        .address_space:  global
        .offset:         16
        .size:           8
        .value_kind:     global_buffer
      - .actual_access:  read_only
        .address_space:  global
        .offset:         24
        .size:           8
        .value_kind:     global_buffer
      - .actual_access:  read_only
        .address_space:  global
        .offset:         32
        .size:           8
        .value_kind:     global_buffer
      - .offset:         40
        .size:           8
        .value_kind:     by_value
      - .address_space:  global
        .offset:         48
        .size:           8
        .value_kind:     global_buffer
      - .address_space:  global
        .offset:         56
        .size:           8
        .value_kind:     global_buffer
      - .address_space:  global
        .offset:         64
        .size:           8
        .value_kind:     global_buffer
      - .address_space:  global
        .offset:         72
        .size:           8
        .value_kind:     global_buffer
      - .offset:         80
        .size:           4
        .value_kind:     by_value
      - .address_space:  global
        .offset:         88
        .size:           8
        .value_kind:     global_buffer
      - .address_space:  global
        .offset:         96
        .size:           8
        .value_kind:     global_buffer
    .group_segment_fixed_size: 4576
    .kernarg_segment_align: 8
    .kernarg_segment_size: 104
    .language:       OpenCL C
    .language_version:
      - 2
      - 0
    .max_flat_workgroup_size: 104
    .name:           bluestein_single_back_len1144_dim1_half_op_CI_CI
    .private_segment_fixed_size: 0
    .sgpr_count:     34
    .sgpr_spill_count: 0
    .symbol:         bluestein_single_back_len1144_dim1_half_op_CI_CI.kd
    .uniform_work_group_size: 1
    .uses_dynamic_stack: false
    .vgpr_count:     164
    .vgpr_spill_count: 0
    .wavefront_size: 64
amdhsa.target:   amdgcn-amd-amdhsa--gfx906
amdhsa.version:
  - 1
  - 2
...

	.end_amdgpu_metadata
